;; amdgpu-corpus repo=ROCm/rocFFT kind=compiled arch=gfx906 opt=O3
	.text
	.amdgcn_target "amdgcn-amd-amdhsa--gfx906"
	.amdhsa_code_object_version 6
	.protected	fft_rtc_fwd_len2002_factors_2_13_7_11_wgs_182_tpt_182_halfLds_dp_op_CI_CI_sbrr_dirReg ; -- Begin function fft_rtc_fwd_len2002_factors_2_13_7_11_wgs_182_tpt_182_halfLds_dp_op_CI_CI_sbrr_dirReg
	.globl	fft_rtc_fwd_len2002_factors_2_13_7_11_wgs_182_tpt_182_halfLds_dp_op_CI_CI_sbrr_dirReg
	.p2align	8
	.type	fft_rtc_fwd_len2002_factors_2_13_7_11_wgs_182_tpt_182_halfLds_dp_op_CI_CI_sbrr_dirReg,@function
fft_rtc_fwd_len2002_factors_2_13_7_11_wgs_182_tpt_182_halfLds_dp_op_CI_CI_sbrr_dirReg: ; @fft_rtc_fwd_len2002_factors_2_13_7_11_wgs_182_tpt_182_halfLds_dp_op_CI_CI_sbrr_dirReg
; %bb.0:
	s_load_dwordx4 s[16:19], s[4:5], 0x18
	s_load_dwordx4 s[12:15], s[4:5], 0x0
	;; [unrolled: 1-line block ×3, first 2 shown]
	v_mul_u32_u24_e32 v1, 0x169, v0
	v_add_u32_sdwa v6, s6, v1 dst_sel:DWORD dst_unused:UNUSED_PAD src0_sel:DWORD src1_sel:WORD_1
	s_waitcnt lgkmcnt(0)
	s_load_dwordx2 s[2:3], s[16:17], 0x0
	s_load_dwordx2 s[20:21], s[18:19], 0x0
	v_cmp_lt_u64_e64 s[0:1], s[14:15], 2
	v_mov_b32_e32 v1, 0
	v_mov_b32_e32 v4, 0
	;; [unrolled: 1-line block ×3, first 2 shown]
	s_and_b64 vcc, exec, s[0:1]
	v_mov_b32_e32 v5, 0
	s_cbranch_vccnz .LBB0_8
; %bb.1:
	s_load_dwordx2 s[0:1], s[4:5], 0x10
	s_add_u32 s6, s18, 8
	s_addc_u32 s7, s19, 0
	s_add_u32 s22, s16, 8
	v_mov_b32_e32 v4, 0
	s_addc_u32 s23, s17, 0
	v_mov_b32_e32 v5, 0
	s_waitcnt lgkmcnt(0)
	s_add_u32 s24, s0, 8
	v_mov_b32_e32 v71, v5
	s_addc_u32 s25, s1, 0
	s_mov_b64 s[26:27], 1
	v_mov_b32_e32 v70, v4
.LBB0_2:                                ; =>This Inner Loop Header: Depth=1
	s_load_dwordx2 s[28:29], s[24:25], 0x0
                                        ; implicit-def: $vgpr72_vgpr73
	s_waitcnt lgkmcnt(0)
	v_or_b32_e32 v2, s29, v7
	v_cmp_ne_u64_e32 vcc, 0, v[1:2]
	s_and_saveexec_b64 s[0:1], vcc
	s_xor_b64 s[30:31], exec, s[0:1]
	s_cbranch_execz .LBB0_4
; %bb.3:                                ;   in Loop: Header=BB0_2 Depth=1
	v_cvt_f32_u32_e32 v2, s28
	v_cvt_f32_u32_e32 v3, s29
	s_sub_u32 s0, 0, s28
	s_subb_u32 s1, 0, s29
	v_mac_f32_e32 v2, 0x4f800000, v3
	v_rcp_f32_e32 v2, v2
	v_mul_f32_e32 v2, 0x5f7ffffc, v2
	v_mul_f32_e32 v3, 0x2f800000, v2
	v_trunc_f32_e32 v3, v3
	v_mac_f32_e32 v2, 0xcf800000, v3
	v_cvt_u32_f32_e32 v3, v3
	v_cvt_u32_f32_e32 v2, v2
	v_mul_lo_u32 v8, s0, v3
	v_mul_hi_u32 v9, s0, v2
	v_mul_lo_u32 v11, s1, v2
	v_mul_lo_u32 v10, s0, v2
	v_add_u32_e32 v8, v9, v8
	v_add_u32_e32 v8, v8, v11
	v_mul_hi_u32 v9, v2, v10
	v_mul_lo_u32 v11, v2, v8
	v_mul_hi_u32 v13, v2, v8
	v_mul_hi_u32 v12, v3, v10
	v_mul_lo_u32 v10, v3, v10
	v_mul_hi_u32 v14, v3, v8
	v_add_co_u32_e32 v9, vcc, v9, v11
	v_addc_co_u32_e32 v11, vcc, 0, v13, vcc
	v_mul_lo_u32 v8, v3, v8
	v_add_co_u32_e32 v9, vcc, v9, v10
	v_addc_co_u32_e32 v9, vcc, v11, v12, vcc
	v_addc_co_u32_e32 v10, vcc, 0, v14, vcc
	v_add_co_u32_e32 v8, vcc, v9, v8
	v_addc_co_u32_e32 v9, vcc, 0, v10, vcc
	v_add_co_u32_e32 v2, vcc, v2, v8
	v_addc_co_u32_e32 v3, vcc, v3, v9, vcc
	v_mul_lo_u32 v8, s0, v3
	v_mul_hi_u32 v9, s0, v2
	v_mul_lo_u32 v10, s1, v2
	v_mul_lo_u32 v11, s0, v2
	v_add_u32_e32 v8, v9, v8
	v_add_u32_e32 v8, v8, v10
	v_mul_lo_u32 v12, v2, v8
	v_mul_hi_u32 v13, v2, v11
	v_mul_hi_u32 v14, v2, v8
	;; [unrolled: 1-line block ×3, first 2 shown]
	v_mul_lo_u32 v11, v3, v11
	v_mul_hi_u32 v9, v3, v8
	v_add_co_u32_e32 v12, vcc, v13, v12
	v_addc_co_u32_e32 v13, vcc, 0, v14, vcc
	v_mul_lo_u32 v8, v3, v8
	v_add_co_u32_e32 v11, vcc, v12, v11
	v_addc_co_u32_e32 v10, vcc, v13, v10, vcc
	v_addc_co_u32_e32 v9, vcc, 0, v9, vcc
	v_add_co_u32_e32 v8, vcc, v10, v8
	v_addc_co_u32_e32 v9, vcc, 0, v9, vcc
	v_add_co_u32_e32 v8, vcc, v2, v8
	v_addc_co_u32_e32 v9, vcc, v3, v9, vcc
	v_mad_u64_u32 v[2:3], s[0:1], v6, v9, 0
	v_mul_hi_u32 v10, v6, v8
	v_add_co_u32_e32 v10, vcc, v10, v2
	v_addc_co_u32_e32 v11, vcc, 0, v3, vcc
	v_mad_u64_u32 v[2:3], s[0:1], v7, v8, 0
	v_mad_u64_u32 v[8:9], s[0:1], v7, v9, 0
	v_add_co_u32_e32 v2, vcc, v10, v2
	v_addc_co_u32_e32 v2, vcc, v11, v3, vcc
	v_addc_co_u32_e32 v3, vcc, 0, v9, vcc
	v_add_co_u32_e32 v8, vcc, v2, v8
	v_addc_co_u32_e32 v9, vcc, 0, v3, vcc
	v_mul_lo_u32 v10, s29, v8
	v_mul_lo_u32 v11, s28, v9
	v_mad_u64_u32 v[2:3], s[0:1], s28, v8, 0
	v_add3_u32 v3, v3, v11, v10
	v_sub_u32_e32 v10, v7, v3
	v_mov_b32_e32 v11, s29
	v_sub_co_u32_e32 v2, vcc, v6, v2
	v_subb_co_u32_e64 v10, s[0:1], v10, v11, vcc
	v_subrev_co_u32_e64 v11, s[0:1], s28, v2
	v_subbrev_co_u32_e64 v10, s[0:1], 0, v10, s[0:1]
	v_cmp_le_u32_e64 s[0:1], s29, v10
	v_cndmask_b32_e64 v12, 0, -1, s[0:1]
	v_cmp_le_u32_e64 s[0:1], s28, v11
	v_cndmask_b32_e64 v11, 0, -1, s[0:1]
	v_cmp_eq_u32_e64 s[0:1], s29, v10
	v_cndmask_b32_e64 v10, v12, v11, s[0:1]
	v_add_co_u32_e64 v11, s[0:1], 2, v8
	v_addc_co_u32_e64 v12, s[0:1], 0, v9, s[0:1]
	v_add_co_u32_e64 v13, s[0:1], 1, v8
	v_addc_co_u32_e64 v14, s[0:1], 0, v9, s[0:1]
	v_subb_co_u32_e32 v3, vcc, v7, v3, vcc
	v_cmp_ne_u32_e64 s[0:1], 0, v10
	v_cmp_le_u32_e32 vcc, s29, v3
	v_cndmask_b32_e64 v10, v14, v12, s[0:1]
	v_cndmask_b32_e64 v12, 0, -1, vcc
	v_cmp_le_u32_e32 vcc, s28, v2
	v_cndmask_b32_e64 v2, 0, -1, vcc
	v_cmp_eq_u32_e32 vcc, s29, v3
	v_cndmask_b32_e32 v2, v12, v2, vcc
	v_cmp_ne_u32_e32 vcc, 0, v2
	v_cndmask_b32_e64 v2, v13, v11, s[0:1]
	v_cndmask_b32_e32 v73, v9, v10, vcc
	v_cndmask_b32_e32 v72, v8, v2, vcc
.LBB0_4:                                ;   in Loop: Header=BB0_2 Depth=1
	s_andn2_saveexec_b64 s[0:1], s[30:31]
	s_cbranch_execz .LBB0_6
; %bb.5:                                ;   in Loop: Header=BB0_2 Depth=1
	v_cvt_f32_u32_e32 v2, s28
	s_sub_i32 s30, 0, s28
	v_mov_b32_e32 v73, v1
	v_rcp_iflag_f32_e32 v2, v2
	v_mul_f32_e32 v2, 0x4f7ffffe, v2
	v_cvt_u32_f32_e32 v2, v2
	v_mul_lo_u32 v3, s30, v2
	v_mul_hi_u32 v3, v2, v3
	v_add_u32_e32 v2, v2, v3
	v_mul_hi_u32 v2, v6, v2
	v_mul_lo_u32 v3, v2, s28
	v_add_u32_e32 v8, 1, v2
	v_sub_u32_e32 v3, v6, v3
	v_subrev_u32_e32 v9, s28, v3
	v_cmp_le_u32_e32 vcc, s28, v3
	v_cndmask_b32_e32 v3, v3, v9, vcc
	v_cndmask_b32_e32 v2, v2, v8, vcc
	v_add_u32_e32 v8, 1, v2
	v_cmp_le_u32_e32 vcc, s28, v3
	v_cndmask_b32_e32 v72, v2, v8, vcc
.LBB0_6:                                ;   in Loop: Header=BB0_2 Depth=1
	s_or_b64 exec, exec, s[0:1]
	v_mul_lo_u32 v8, v73, s28
	v_mul_lo_u32 v9, v72, s29
	v_mad_u64_u32 v[2:3], s[0:1], v72, s28, 0
	s_load_dwordx2 s[0:1], s[22:23], 0x0
	s_load_dwordx2 s[28:29], s[6:7], 0x0
	v_add3_u32 v3, v3, v9, v8
	v_sub_co_u32_e32 v2, vcc, v6, v2
	v_subb_co_u32_e32 v3, vcc, v7, v3, vcc
	s_waitcnt lgkmcnt(0)
	v_mul_lo_u32 v6, s0, v3
	v_mul_lo_u32 v7, s1, v2
	v_mad_u64_u32 v[4:5], s[0:1], s0, v2, v[4:5]
	v_mul_lo_u32 v3, s28, v3
	v_mul_lo_u32 v8, s29, v2
	v_mad_u64_u32 v[70:71], s[0:1], s28, v2, v[70:71]
	s_add_u32 s26, s26, 1
	s_addc_u32 s27, s27, 0
	s_add_u32 s6, s6, 8
	v_add3_u32 v71, v8, v71, v3
	s_addc_u32 s7, s7, 0
	v_mov_b32_e32 v2, s14
	s_add_u32 s22, s22, 8
	v_mov_b32_e32 v3, s15
	s_addc_u32 s23, s23, 0
	v_cmp_ge_u64_e32 vcc, s[26:27], v[2:3]
	s_add_u32 s24, s24, 8
	v_add3_u32 v5, v7, v5, v6
	s_addc_u32 s25, s25, 0
	s_cbranch_vccnz .LBB0_9
; %bb.7:                                ;   in Loop: Header=BB0_2 Depth=1
	v_mov_b32_e32 v6, v72
	v_mov_b32_e32 v7, v73
	s_branch .LBB0_2
.LBB0_8:
	v_mov_b32_e32 v71, v5
	v_mov_b32_e32 v73, v7
	;; [unrolled: 1-line block ×4, first 2 shown]
.LBB0_9:
	s_load_dwordx2 s[0:1], s[4:5], 0x28
	s_lshl_b64 s[14:15], s[14:15], 3
	s_add_u32 s4, s18, s14
	s_addc_u32 s5, s19, s15
                                        ; implicit-def: $sgpr18
                                        ; implicit-def: $vgpr155
                                        ; implicit-def: $vgpr159
                                        ; implicit-def: $vgpr156
                                        ; implicit-def: $vgpr157
                                        ; implicit-def: $vgpr158
	s_waitcnt lgkmcnt(0)
	v_cmp_gt_u64_e32 vcc, s[0:1], v[72:73]
	v_cmp_le_u64_e64 s[0:1], s[0:1], v[72:73]
	s_and_saveexec_b64 s[6:7], s[0:1]
	s_xor_b64 s[0:1], exec, s[6:7]
; %bb.10:
	s_mov_b32 s6, 0x1681682
	v_mul_hi_u32 v1, v0, s6
	s_mov_b32 s18, 0
                                        ; implicit-def: $vgpr4_vgpr5
	v_mul_u32_u24_e32 v1, 0xb6, v1
	v_sub_u32_e32 v155, v0, v1
	v_add_u32_e32 v159, 0xb6, v155
	v_add_u32_e32 v156, 0x16c, v155
	;; [unrolled: 1-line block ×4, first 2 shown]
                                        ; implicit-def: $vgpr0
; %bb.11:
	s_or_saveexec_b64 s[6:7], s[0:1]
	s_load_dwordx2 s[4:5], s[4:5], 0x0
	v_mov_b32_e32 v154, s18
                                        ; implicit-def: $vgpr68_vgpr69
                                        ; implicit-def: $vgpr64_vgpr65
                                        ; implicit-def: $vgpr28_vgpr29
                                        ; implicit-def: $vgpr36_vgpr37
                                        ; implicit-def: $vgpr52_vgpr53
                                        ; implicit-def: $vgpr40_vgpr41
                                        ; implicit-def: $vgpr56_vgpr57
                                        ; implicit-def: $vgpr44_vgpr45
                                        ; implicit-def: $vgpr60_vgpr61
                                        ; implicit-def: $vgpr48_vgpr49
                                        ; implicit-def: $vgpr2_vgpr3
                                        ; implicit-def: $vgpr32_vgpr33
	s_xor_b64 exec, exec, s[6:7]
	s_cbranch_execz .LBB0_15
; %bb.12:
	s_add_u32 s0, s16, s14
	s_mov_b32 s14, 0x1681682
	s_addc_u32 s1, s17, s15
	v_mul_hi_u32 v1, v0, s14
	s_load_dwordx2 s[0:1], s[0:1], 0x0
                                        ; implicit-def: $vgpr62_vgpr63
                                        ; implicit-def: $vgpr66_vgpr67
	v_mul_u32_u24_e32 v1, 0xb6, v1
	v_sub_u32_e32 v155, v0, v1
	s_waitcnt lgkmcnt(0)
	v_mul_lo_u32 v8, s1, v72
	v_mad_u64_u32 v[0:1], s[14:15], s2, v155, 0
	v_mul_lo_u32 v9, s0, v73
	v_mad_u64_u32 v[2:3], s[0:1], s0, v72, 0
	v_add_u32_e32 v10, 0x3e9, v155
	v_add_u32_e32 v159, 0xb6, v155
	v_mad_u64_u32 v[6:7], s[0:1], s3, v155, v[1:2]
	v_add3_u32 v3, v3, v9, v8
	v_lshlrev_b64 v[2:3], 4, v[2:3]
	v_mov_b32_e32 v1, v6
	v_mov_b32_e32 v6, s9
	v_add_co_u32_e64 v8, s[0:1], s8, v2
	v_addc_co_u32_e64 v9, s[0:1], v6, v3, s[0:1]
	v_mad_u64_u32 v[6:7], s[0:1], s2, v10, 0
	v_lshlrev_b64 v[2:3], 4, v[4:5]
	v_lshlrev_b64 v[0:1], 4, v[0:1]
	v_add_co_u32_e64 v4, s[0:1], v8, v2
	v_mov_b32_e32 v2, v7
	v_addc_co_u32_e64 v5, s[0:1], v9, v3, s[0:1]
	v_mad_u64_u32 v[2:3], s[0:1], s3, v10, v[2:3]
	v_mad_u64_u32 v[8:9], s[0:1], s2, v159, 0
	v_add_co_u32_e64 v10, s[0:1], v4, v0
	v_mov_b32_e32 v7, v2
	v_mov_b32_e32 v2, v9
	v_addc_co_u32_e64 v11, s[0:1], v5, v1, s[0:1]
	v_mad_u64_u32 v[2:3], s[0:1], s3, v159, v[2:3]
	v_add_u32_e32 v3, 0x49f, v155
	v_lshlrev_b64 v[0:1], 4, v[6:7]
	v_mad_u64_u32 v[6:7], s[0:1], s2, v3, 0
	v_add_co_u32_e64 v12, s[0:1], v4, v0
	v_mov_b32_e32 v9, v2
	v_mov_b32_e32 v2, v7
	v_add_u32_e32 v156, 0x16c, v155
	v_addc_co_u32_e64 v13, s[0:1], v5, v1, s[0:1]
	v_lshlrev_b64 v[0:1], 4, v[8:9]
	v_mad_u64_u32 v[2:3], s[0:1], s3, v3, v[2:3]
	v_mad_u64_u32 v[8:9], s[0:1], s2, v156, 0
	v_add_co_u32_e64 v14, s[0:1], v4, v0
	v_mov_b32_e32 v7, v2
	v_mov_b32_e32 v2, v9
	v_addc_co_u32_e64 v15, s[0:1], v5, v1, s[0:1]
	v_mad_u64_u32 v[2:3], s[0:1], s3, v156, v[2:3]
	v_add_u32_e32 v3, 0x555, v155
	v_lshlrev_b64 v[0:1], 4, v[6:7]
	v_mad_u64_u32 v[6:7], s[0:1], s2, v3, 0
	v_add_co_u32_e64 v16, s[0:1], v4, v0
	v_mov_b32_e32 v9, v2
	v_mov_b32_e32 v2, v7
	v_add_u32_e32 v157, 0x222, v155
	v_addc_co_u32_e64 v17, s[0:1], v5, v1, s[0:1]
	v_lshlrev_b64 v[0:1], 4, v[8:9]
	;; [unrolled: 16-line block ×3, first 2 shown]
	v_mad_u64_u32 v[2:3], s[0:1], s3, v3, v[2:3]
	v_mad_u64_u32 v[8:9], s[0:1], s2, v158, 0
	v_add_co_u32_e64 v22, s[0:1], v4, v0
	v_mov_b32_e32 v7, v2
	v_mov_b32_e32 v2, v9
	v_addc_co_u32_e64 v23, s[0:1], v5, v1, s[0:1]
	v_mad_u64_u32 v[2:3], s[0:1], s3, v158, v[2:3]
	v_add_u32_e32 v3, 0x6c1, v155
	v_lshlrev_b64 v[0:1], 4, v[6:7]
	v_mad_u64_u32 v[6:7], s[0:1], s2, v3, 0
	v_add_co_u32_e64 v24, s[0:1], v4, v0
	v_mov_b32_e32 v9, v2
	v_mov_b32_e32 v2, v7
	v_addc_co_u32_e64 v25, s[0:1], v5, v1, s[0:1]
	v_lshlrev_b64 v[0:1], 4, v[8:9]
	v_mad_u64_u32 v[7:8], s[0:1], s3, v3, v[2:3]
	v_add_co_u32_e64 v8, s[0:1], v4, v0
	v_lshlrev_b64 v[6:7], 4, v[6:7]
	v_addc_co_u32_e64 v9, s[0:1], v5, v1, s[0:1]
	v_add_co_u32_e64 v6, s[0:1], v4, v6
	global_load_dwordx4 v[30:33], v[10:11], off
	global_load_dwordx4 v[0:3], v[12:13], off
	v_addc_co_u32_e64 v7, s[0:1], v5, v7, s[0:1]
	global_load_dwordx4 v[46:49], v[14:15], off
	global_load_dwordx4 v[58:61], v[16:17], off
	;; [unrolled: 1-line block ×8, first 2 shown]
	s_movk_i32 s0, 0x5b
	v_cmp_gt_u32_e64 s[0:1], s0, v155
	s_and_saveexec_b64 s[8:9], s[0:1]
	s_cbranch_execz .LBB0_14
; %bb.13:
	v_add_u32_e32 v10, 0x38e, v155
	v_add_u32_e32 v12, 0x777, v155
	v_mad_u64_u32 v[6:7], s[0:1], s2, v10, 0
	v_mad_u64_u32 v[8:9], s[0:1], s2, v12, 0
	;; [unrolled: 1-line block ×3, first 2 shown]
	v_mov_b32_e32 v7, v10
	v_mad_u64_u32 v[9:10], s[0:1], s3, v12, v[9:10]
	v_lshlrev_b64 v[6:7], 4, v[6:7]
	v_add_co_u32_e64 v6, s[0:1], v4, v6
	v_lshlrev_b64 v[8:9], 4, v[8:9]
	v_addc_co_u32_e64 v7, s[0:1], v5, v7, s[0:1]
	v_add_co_u32_e64 v4, s[0:1], v4, v8
	v_addc_co_u32_e64 v5, s[0:1], v5, v9, s[0:1]
	global_load_dwordx4 v[62:65], v[6:7], off
	global_load_dwordx4 v[66:69], v[4:5], off
.LBB0_14:
	s_or_b64 exec, exec, s[8:9]
	v_mov_b32_e32 v154, v155
.LBB0_15:
	s_or_b64 exec, exec, s[6:7]
	s_waitcnt vmcnt(8)
	v_add_f64 v[6:7], v[30:31], -v[0:1]
	s_waitcnt vmcnt(6)
	v_add_f64 v[10:11], v[46:47], -v[58:59]
	;; [unrolled: 2-line block ×5, first 2 shown]
	v_add_f64 v[26:27], v[62:63], -v[66:67]
	s_movk_i32 s0, 0x5b
	v_add_u32_e32 v0, 0x38e, v155
	v_fma_f64 v[4:5], v[30:31], 2.0, -v[6:7]
	v_fma_f64 v[8:9], v[46:47], 2.0, -v[10:11]
	;; [unrolled: 1-line block ×6, first 2 shown]
	v_lshl_add_u32 v50, v155, 4, 0
	v_lshl_add_u32 v51, v159, 4, 0
	;; [unrolled: 1-line block ×5, first 2 shown]
	v_cmp_gt_u32_e64 s[2:3], s0, v155
	v_lshl_add_u32 v58, v0, 4, 0
	ds_write_b128 v50, v[4:7]
	ds_write_b128 v51, v[8:11]
	;; [unrolled: 1-line block ×5, first 2 shown]
	s_and_saveexec_b64 s[0:1], s[2:3]
	s_cbranch_execz .LBB0_17
; %bb.16:
	ds_write_b128 v58, v[24:27]
.LBB0_17:
	s_or_b64 exec, exec, s[0:1]
	s_movk_i32 s0, 0x9a
	v_cmp_gt_u32_e64 s[0:1], s0, v155
	v_lshlrev_b32_e32 v54, 3, v155
	s_waitcnt lgkmcnt(0)
	s_barrier
	s_waitcnt lgkmcnt(0)
                                        ; implicit-def: $vgpr76_vgpr77
	s_and_saveexec_b64 s[6:7], s[0:1]
	s_cbranch_execz .LBB0_19
; %bb.18:
	v_sub_u32_e32 v0, v50, v54
	v_add_u32_e32 v1, 0x800, v0
	ds_read2_b64 v[8:11], v1 offset0:52 offset1:206
	v_add_u32_e32 v1, 0x1200, v0
	ds_read2_b64 v[12:15], v1 offset0:40 offset1:194
	;; [unrolled: 2-line block ×4, first 2 shown]
	v_add_u32_e32 v1, 0x3000, v0
	ds_read2_b64 v[4:7], v0 offset1:154
	ds_read2_b64 v[24:27], v1 offset0:4 offset1:158
	ds_read_b64 v[76:77], v0 offset:14784
.LBB0_19:
	s_or_b64 exec, exec, s[6:7]
	v_add_f64 v[2:3], v[32:33], -v[2:3]
	v_add_f64 v[30:31], v[48:49], -v[60:61]
	;; [unrolled: 1-line block ×6, first 2 shown]
	s_waitcnt lgkmcnt(0)
	s_barrier
	v_fma_f64 v[0:1], v[32:33], 2.0, -v[2:3]
	v_fma_f64 v[28:29], v[48:49], 2.0, -v[30:31]
	;; [unrolled: 1-line block ×6, first 2 shown]
	ds_write_b128 v50, v[0:3]
	ds_write_b128 v51, v[28:31]
	;; [unrolled: 1-line block ×5, first 2 shown]
	s_and_saveexec_b64 s[6:7], s[2:3]
	s_cbranch_execz .LBB0_21
; %bb.20:
	ds_write_b128 v58, v[44:47]
.LBB0_21:
	s_or_b64 exec, exec, s[6:7]
	s_waitcnt lgkmcnt(0)
	s_barrier
	s_waitcnt lgkmcnt(0)
                                        ; implicit-def: $vgpr56_vgpr57
	s_and_saveexec_b64 s[2:3], s[0:1]
	s_cbranch_execz .LBB0_23
; %bb.22:
	v_sub_u32_e32 v48, v50, v54
	v_add_u32_e32 v36, 0x1c00, v48
	v_add_u32_e32 v28, 0x800, v48
	;; [unrolled: 1-line block ×3, first 2 shown]
	ds_read2_b64 v[40:43], v36 offset0:28 offset1:182
	v_add_u32_e32 v36, 0x2400, v48
	v_add_u32_e32 v44, 0x3000, v48
	ds_read2_b64 v[0:3], v48 offset1:154
	ds_read2_b64 v[28:31], v28 offset0:52 offset1:206
	ds_read2_b64 v[32:35], v32 offset0:40 offset1:194
	;; [unrolled: 1-line block ×4, first 2 shown]
	ds_read_b64 v[56:57], v48 offset:14784
.LBB0_23:
	s_or_b64 exec, exec, s[2:3]
	v_and_b32_e32 v162, 1, v155
	v_mul_u32_u24_e32 v48, 12, v162
	v_lshlrev_b32_e32 v62, 4, v48
	global_load_dwordx4 v[48:51], v62, s[12:13] offset:16
	global_load_dwordx4 v[52:55], v62, s[12:13] offset:32
	global_load_dwordx4 v[58:61], v62, s[12:13] offset:48
	global_load_dwordx4 v[78:81], v62, s[12:13] offset:64
	global_load_dwordx4 v[82:85], v62, s[12:13] offset:80
	global_load_dwordx4 v[86:89], v62, s[12:13] offset:96
	global_load_dwordx4 v[90:93], v62, s[12:13] offset:176
	global_load_dwordx4 v[94:97], v62, s[12:13]
	global_load_dwordx4 v[98:101], v62, s[12:13] offset:112
	global_load_dwordx4 v[102:105], v62, s[12:13] offset:128
	;; [unrolled: 1-line block ×4, first 2 shown]
	s_mov_b32 s34, 0x42a4c3d2
	s_mov_b32 s36, 0x66966769
	;; [unrolled: 1-line block ×30, first 2 shown]
	s_waitcnt vmcnt(0) lgkmcnt(0)
	s_barrier
	v_mul_f64 v[62:63], v[28:29], v[50:51]
	v_mul_f64 v[50:51], v[8:9], v[50:51]
	;; [unrolled: 1-line block ×16, first 2 shown]
	v_fma_f64 v[54:55], v[28:29], v[48:49], v[50:51]
	v_fma_f64 v[66:67], v[10:11], v[52:53], -v[64:65]
	v_fma_f64 v[64:65], v[12:13], v[58:59], -v[114:115]
	v_fma_f64 v[50:51], v[32:33], v[58:59], v[60:61]
	v_fma_f64 v[58:59], v[20:21], v[82:83], -v[118:119]
	v_fma_f64 v[20:21], v[56:57], v[90:91], v[92:93]
	v_fma_f64 v[56:57], v[2:3], v[94:95], v[96:97]
	v_mul_f64 v[88:89], v[22:23], v[88:89]
	v_mul_f64 v[126:127], v[36:37], v[100:101]
	;; [unrolled: 1-line block ×7, first 2 shown]
	v_fma_f64 v[74:75], v[8:9], v[48:49], -v[62:63]
	v_fma_f64 v[62:63], v[14:15], v[78:79], -v[116:117]
	v_fma_f64 v[48:49], v[34:35], v[78:79], v[80:81]
	v_fma_f64 v[60:61], v[22:23], v[86:87], -v[120:121]
	v_fma_f64 v[78:79], v[76:77], v[90:91], -v[122:123]
	v_fma_f64 v[22:23], v[46:47], v[106:107], v[130:131]
	v_fma_f64 v[80:81], v[6:7], v[94:95], -v[124:125]
	v_add_f64 v[2:3], v[56:57], -v[20:21]
	v_mul_f64 v[112:113], v[24:25], v[112:113]
	v_fma_f64 v[52:53], v[30:31], v[52:53], v[68:69]
	v_fma_f64 v[34:35], v[40:41], v[82:83], v[84:85]
	;; [unrolled: 1-line block ×3, first 2 shown]
	v_fma_f64 v[76:77], v[26:27], v[106:107], -v[108:109]
	v_fma_f64 v[68:69], v[24:25], v[110:111], -v[132:133]
	v_add_f64 v[6:7], v[54:55], -v[22:23]
	v_fma_f64 v[24:25], v[38:39], v[102:103], v[104:105]
	v_add_f64 v[124:125], v[80:81], v[78:79]
	v_mul_f64 v[36:37], v[2:3], s[22:23]
	v_mul_f64 v[38:39], v[2:3], s[34:35]
	;; [unrolled: 1-line block ×3, first 2 shown]
	v_fma_f64 v[46:47], v[16:17], v[98:99], -v[126:127]
	v_fma_f64 v[16:17], v[44:45], v[110:111], v[112:113]
	v_fma_f64 v[44:45], v[18:19], v[102:103], -v[128:129]
	v_add_f64 v[120:121], v[74:75], v[76:77]
	v_mul_f64 v[18:19], v[6:7], s[34:35]
	v_mul_f64 v[26:27], v[6:7], s[24:25]
	;; [unrolled: 1-line block ×6, first 2 shown]
	v_fma_f64 v[2:3], v[124:125], s[2:3], v[36:37]
	v_fma_f64 v[10:11], v[124:125], s[6:7], v[38:39]
	;; [unrolled: 1-line block ×3, first 2 shown]
	s_mov_b32 s23, 0x3fddbe06
	v_fma_f64 v[30:31], v[42:43], v[86:87], v[88:89]
	v_add_f64 v[8:9], v[52:53], -v[16:17]
	v_mul_f64 v[86:87], v[6:7], s[38:39]
	v_mul_f64 v[106:107], v[6:7], s[30:31]
	;; [unrolled: 1-line block ×3, first 2 shown]
	v_fma_f64 v[6:7], v[120:121], s[6:7], v[18:19]
	v_fma_f64 v[12:13], v[120:121], s[8:9], v[26:27]
	;; [unrolled: 1-line block ×4, first 2 shown]
	v_add_f64 v[2:3], v[4:5], v[2:3]
	v_add_f64 v[10:11], v[4:5], v[10:11]
	;; [unrolled: 1-line block ×4, first 2 shown]
	v_mul_f64 v[32:33], v[8:9], s[36:37]
	v_fma_f64 v[94:95], v[120:121], s[16:17], v[86:87]
	v_fma_f64 v[96:97], v[124:125], s[16:17], v[114:115]
	;; [unrolled: 1-line block ×3, first 2 shown]
	v_add_f64 v[104:105], v[4:5], v[88:89]
	v_add_f64 v[2:3], v[6:7], v[2:3]
	;; [unrolled: 1-line block ×4, first 2 shown]
	v_mul_f64 v[92:93], v[8:9], s[22:23]
	v_add_f64 v[108:109], v[50:51], -v[24:25]
	v_mul_f64 v[88:89], v[8:9], s[40:41]
	v_mul_f64 v[42:43], v[8:9], s[26:27]
	v_fma_f64 v[100:101], v[120:121], s[14:15], v[106:107]
	v_fma_f64 v[102:103], v[120:121], s[2:3], v[90:91]
	v_add_f64 v[96:97], v[4:5], v[96:97]
	v_add_f64 v[98:99], v[4:5], v[98:99]
	v_fma_f64 v[12:13], v[130:131], s[14:15], v[32:33]
	v_add_f64 v[14:15], v[94:95], v[104:105]
	v_fma_f64 v[118:119], v[130:131], s[2:3], v[92:93]
	v_add_f64 v[146:147], v[64:65], v[44:45]
	v_mul_f64 v[94:95], v[108:109], s[24:25]
	v_fma_f64 v[104:105], v[130:131], s[8:9], v[88:89]
	v_add_f64 v[100:101], v[100:101], v[96:97]
	v_add_f64 v[102:103], v[102:103], v[98:99]
	v_fma_f64 v[98:99], v[130:131], s[18:19], v[42:43]
	v_mul_f64 v[116:117], v[8:9], s[34:35]
	v_mul_f64 v[112:113], v[8:9], s[28:29]
	;; [unrolled: 1-line block ×3, first 2 shown]
	v_add_f64 v[2:3], v[12:13], v[2:3]
	v_add_f64 v[12:13], v[118:119], v[14:15]
	v_fma_f64 v[118:119], v[146:147], s[8:9], v[94:95]
	v_add_f64 v[8:9], v[104:105], v[10:11]
	v_mul_f64 v[104:105], v[108:109], s[36:37]
	s_mov_b32 s37, 0x3fcea1e5
	s_mov_b32 s36, s26
	v_add_f64 v[6:7], v[98:99], v[6:7]
	v_fma_f64 v[10:11], v[130:131], s[6:7], v[116:117]
	v_fma_f64 v[14:15], v[130:131], s[16:17], v[112:113]
	;; [unrolled: 1-line block ×3, first 2 shown]
	v_mul_f64 v[98:99], v[108:109], s[22:23]
	v_mul_f64 v[126:127], v[108:109], s[36:37]
	v_add_f64 v[2:3], v[118:119], v[2:3]
	v_add_f64 v[118:119], v[48:49], -v[28:29]
	s_mov_b32 s39, 0x3fea55e2
	s_mov_b32 s38, s34
	v_add_f64 v[10:11], v[10:11], v[100:101]
	v_add_f64 v[14:15], v[14:15], v[102:103]
	;; [unrolled: 1-line block ×3, first 2 shown]
	v_fma_f64 v[122:123], v[146:147], s[2:3], v[98:99]
	v_fma_f64 v[128:129], v[146:147], s[14:15], v[104:105]
	;; [unrolled: 1-line block ×3, first 2 shown]
	v_mul_f64 v[134:135], v[108:109], s[38:39]
	v_add_f64 v[136:137], v[62:63], v[46:47]
	v_mul_f64 v[100:101], v[118:119], s[28:29]
	v_mul_f64 v[102:103], v[118:119], s[30:31]
	;; [unrolled: 1-line block ×4, first 2 shown]
	v_add_f64 v[8:9], v[122:123], v[8:9]
	v_add_f64 v[12:13], v[128:129], v[12:13]
	v_fma_f64 v[122:123], v[146:147], s[6:7], v[134:135]
	v_add_f64 v[10:11], v[138:139], v[10:11]
	v_fma_f64 v[128:129], v[136:137], s[16:17], v[100:101]
	v_fma_f64 v[142:143], v[136:137], s[14:15], v[102:103]
	;; [unrolled: 1-line block ×4, first 2 shown]
	v_mul_f64 v[140:141], v[118:119], s[22:23]
	v_mul_f64 v[138:139], v[118:119], s[24:25]
	v_add_f64 v[150:151], v[34:35], -v[30:31]
	v_add_f64 v[14:15], v[122:123], v[14:15]
	v_add_f64 v[2:3], v[128:129], v[2:3]
	;; [unrolled: 1-line block ×5, first 2 shown]
	v_fma_f64 v[6:7], v[136:137], s[2:3], v[140:141]
	v_fma_f64 v[8:9], v[136:137], s[8:9], v[138:139]
	v_add_f64 v[142:143], v[58:59], v[60:61]
	v_mul_f64 v[118:119], v[150:151], s[26:27]
	v_mul_f64 v[122:123], v[150:151], s[22:23]
	;; [unrolled: 1-line block ×6, first 2 shown]
	v_add_f64 v[163:164], v[6:7], v[10:11]
	v_add_f64 v[165:166], v[8:9], v[14:15]
	v_fma_f64 v[6:7], v[142:143], s[18:19], v[118:119]
	v_fma_f64 v[8:9], v[142:143], s[2:3], v[122:123]
	;; [unrolled: 1-line block ×6, first 2 shown]
	v_add_f64 v[6:7], v[6:7], v[2:3]
	v_add_f64 v[8:9], v[8:9], v[152:153]
	;; [unrolled: 1-line block ×6, first 2 shown]
	v_lshrrev_b32_e32 v163, 1, v155
	s_and_saveexec_b64 s[22:23], s[0:1]
	s_cbranch_execz .LBB0_25
; %bb.24:
	v_mul_f64 v[168:169], v[124:125], s[16:17]
	v_mul_f64 v[152:153], v[124:125], s[2:3]
	v_mul_f64 v[160:161], v[124:125], s[6:7]
	v_mul_f64 v[164:165], v[124:125], s[14:15]
	v_mul_f64 v[166:167], v[124:125], s[8:9]
	v_mul_f64 v[124:125], v[124:125], s[18:19]
	v_mul_f64 v[178:179], v[120:121], s[14:15]
	v_mul_f64 v[170:171], v[120:121], s[6:7]
	v_add_f64 v[114:115], v[168:169], -v[114:115]
	v_mul_f64 v[172:173], v[120:121], s[8:9]
	v_mul_f64 v[174:175], v[120:121], s[18:19]
	;; [unrolled: 1-line block ×5, first 2 shown]
	v_add_f64 v[110:111], v[124:125], -v[110:111]
	v_add_f64 v[106:107], v[178:179], -v[106:107]
	v_add_f64 v[114:115], v[4:5], v[114:115]
	v_add_f64 v[124:125], v[4:5], v[80:81]
	v_mul_f64 v[196:197], v[146:147], s[18:19]
	v_add_f64 v[36:37], v[152:153], -v[36:37]
	v_add_f64 v[90:91], v[120:121], -v[90:91]
	;; [unrolled: 1-line block ×3, first 2 shown]
	v_add_f64 v[110:111], v[4:5], v[110:111]
	v_add_f64 v[84:85], v[164:165], -v[84:85]
	v_add_f64 v[106:107], v[106:107], v[114:115]
	v_add_f64 v[114:115], v[124:125], v[74:75]
	v_add_f64 v[38:39], v[160:161], -v[38:39]
	v_add_f64 v[82:83], v[166:167], -v[82:83]
	v_mul_f64 v[180:181], v[130:131], s[14:15]
	v_add_f64 v[18:19], v[170:171], -v[18:19]
	v_add_f64 v[90:91], v[90:91], v[110:111]
	v_add_f64 v[110:111], v[196:197], -v[126:127]
	v_add_f64 v[106:107], v[116:117], v[106:107]
	v_add_f64 v[114:115], v[114:115], v[66:67]
	;; [unrolled: 1-line block ×3, first 2 shown]
	v_mul_f64 v[182:183], v[130:131], s[18:19]
	v_mul_f64 v[184:185], v[130:131], s[8:9]
	v_add_f64 v[40:41], v[174:175], -v[40:41]
	v_add_f64 v[84:85], v[4:5], v[84:85]
	v_add_f64 v[26:27], v[172:173], -v[26:27]
	v_add_f64 v[106:107], v[110:111], v[106:107]
	v_add_f64 v[110:111], v[114:115], v[64:65]
	;; [unrolled: 1-line block ×3, first 2 shown]
	v_mul_f64 v[186:187], v[130:131], s[2:3]
	v_mul_f64 v[130:131], v[130:131], s[16:17]
	v_add_f64 v[86:87], v[176:177], -v[86:87]
	v_add_f64 v[4:5], v[4:5], v[82:83]
	v_mul_f64 v[190:191], v[146:147], s[8:9]
	v_add_f64 v[32:33], v[180:181], -v[32:33]
	v_add_f64 v[110:111], v[110:111], v[62:63]
	v_add_f64 v[18:19], v[18:19], v[36:37]
	v_mul_f64 v[192:193], v[146:147], s[16:17]
	v_mul_f64 v[168:169], v[146:147], s[2:3]
	v_add_f64 v[82:83], v[184:185], -v[88:89]
	v_add_f64 v[40:41], v[40:41], v[84:85]
	v_add_f64 v[42:43], v[182:183], -v[42:43]
	v_add_f64 v[26:27], v[26:27], v[38:39]
	v_add_f64 v[110:111], v[110:111], v[58:59]
	v_mul_f64 v[194:195], v[146:147], s[14:15]
	v_mul_f64 v[120:121], v[136:137], s[2:3]
	v_add_f64 v[112:113], v[130:131], -v[112:113]
	v_add_f64 v[92:93], v[186:187], -v[92:93]
	v_add_f64 v[4:5], v[86:87], v[4:5]
	v_mul_f64 v[146:147], v[146:147], s[6:7]
	v_mul_f64 v[198:199], v[136:137], s[16:17]
	v_add_f64 v[110:111], v[110:111], v[60:61]
	v_add_f64 v[84:85], v[190:191], -v[94:95]
	v_add_f64 v[18:19], v[32:33], v[18:19]
	v_mul_f64 v[178:179], v[136:137], s[14:15]
	v_mul_f64 v[200:201], v[136:137], s[6:7]
	v_add_f64 v[38:39], v[168:169], -v[98:99]
	v_add_f64 v[40:41], v[82:83], v[40:41]
	v_add_f64 v[82:83], v[192:193], -v[96:97]
	v_add_f64 v[36:37], v[110:111], v[46:47]
	v_add_f64 v[26:27], v[42:43], v[26:27]
	v_mul_f64 v[202:203], v[136:137], s[18:19]
	v_add_f64 v[90:91], v[112:113], v[90:91]
	v_add_f64 v[112:113], v[120:121], -v[140:141]
	v_mul_f64 v[114:115], v[142:143], s[6:7]
	v_add_f64 v[104:105], v[194:195], -v[104:105]
	v_add_f64 v[4:5], v[92:93], v[4:5]
	v_add_f64 v[32:33], v[36:37], v[44:45]
	v_mul_f64 v[124:125], v[136:137], s[8:9]
	v_add_f64 v[134:135], v[146:147], -v[134:135]
	v_mul_f64 v[136:137], v[142:143], s[18:19]
	v_add_f64 v[42:43], v[198:199], -v[100:101]
	v_add_f64 v[18:19], v[84:85], v[18:19]
	v_mul_f64 v[116:117], v[142:143], s[2:3]
	v_mul_f64 v[120:121], v[142:143], s[16:17]
	v_add_f64 v[32:33], v[32:33], v[68:69]
	v_add_f64 v[36:37], v[200:201], -v[108:109]
	v_add_f64 v[38:39], v[38:39], v[40:41]
	v_add_f64 v[40:41], v[178:179], -v[102:103]
	v_add_f64 v[26:27], v[82:83], v[26:27]
	v_mul_f64 v[126:127], v[142:143], s[8:9]
	v_add_f64 v[106:107], v[112:113], v[106:107]
	v_add_f64 v[112:113], v[114:115], -v[144:145]
	v_add_f64 v[114:115], v[202:203], -v[132:133]
	v_add_f64 v[4:5], v[104:105], v[4:5]
	v_mul_f64 v[130:131], v[142:143], s[14:15]
	v_add_f64 v[124:125], v[124:125], -v[138:139]
	v_add_f64 v[90:91], v[134:135], v[90:91]
	v_add_f64 v[84:85], v[136:137], -v[118:119]
	v_add_f64 v[18:19], v[42:43], v[18:19]
	v_add_f64 v[32:33], v[32:33], v[76:77]
	v_add_f64 v[82:83], v[120:121], -v[128:129]
	v_add_f64 v[36:37], v[36:37], v[38:39]
	v_add_f64 v[38:39], v[116:117], -v[122:123]
	;; [unrolled: 2-line block ×4, first 2 shown]
	v_add_f64 v[40:41], v[124:125], v[90:91]
	v_add_f64 v[18:19], v[84:85], v[18:19]
	;; [unrolled: 1-line block ×8, first 2 shown]
	v_mul_u32_u24_e32 v40, 26, v163
	v_or_b32_e32 v40, v40, v162
	v_lshl_add_u32 v40, v40, 3, 0
	ds_write2_b64 v40, v[32:33], v[18:19] offset1:2
	ds_write2_b64 v40, v[26:27], v[36:37] offset0:4 offset1:6
	ds_write2_b64 v40, v[4:5], v[42:43] offset0:8 offset1:10
	;; [unrolled: 1-line block ×5, first 2 shown]
	ds_write_b64 v40, v[6:7] offset:192
.LBB0_25:
	s_or_b64 exec, exec, s[22:23]
	v_lshl_add_u32 v160, v155, 3, 0
	s_waitcnt lgkmcnt(0)
	s_barrier
	ds_read_b64 v[18:19], v160
	ds_read_b64 v[40:41], v160 offset:2288
	ds_read_b64 v[36:37], v160 offset:4576
	ds_read_b64 v[32:33], v160 offset:6864
	ds_read_b64 v[26:27], v160 offset:9152
	ds_read_b64 v[38:39], v160 offset:11440
	ds_read_b64 v[42:43], v160 offset:13728
	s_movk_i32 s2, 0x68
	v_cmp_gt_u32_e64 s[2:3], s2, v155
	v_lshl_add_u32 v161, v159, 3, 0
                                        ; implicit-def: $vgpr4_vgpr5
	s_and_saveexec_b64 s[6:7], s[2:3]
	s_cbranch_execz .LBB0_27
; %bb.26:
	ds_read_b64 v[14:15], v160 offset:3744
	ds_read_b64 v[12:13], v160 offset:6032
	;; [unrolled: 1-line block ×5, first 2 shown]
	ds_read_b64 v[2:3], v161
	ds_read_b64 v[4:5], v160 offset:15184
.LBB0_27:
	s_or_b64 exec, exec, s[6:7]
	v_add_f64 v[90:91], v[80:81], -v[78:79]
	s_mov_b32 s25, 0xbfddbe06
	s_mov_b32 s24, 0x4267c47c
	v_add_f64 v[84:85], v[56:57], v[20:21]
	s_mov_b32 s28, 0x42a4c3d2
	s_mov_b32 s34, 0x66966769
	;; [unrolled: 1-line block ×4, first 2 shown]
	v_mul_f64 v[78:79], v[90:91], s[24:25]
	s_mov_b32 s35, 0xbfefc445
	s_mov_b32 s17, 0x3fec55a7
	v_mul_f64 v[80:81], v[90:91], s[28:29]
	v_mul_f64 v[82:83], v[90:91], s[34:35]
	s_mov_b32 s8, 0x1ea71119
	s_mov_b32 s6, 0xebaa3ed8
	;; [unrolled: 1-line block ×3, first 2 shown]
	v_fma_f64 v[88:89], v[84:85], s[16:17], -v[78:79]
	s_mov_b32 s30, 0x24c2f84
	s_mov_b32 s9, 0x3fe22d96
	;; [unrolled: 1-line block ×5, first 2 shown]
	v_fma_f64 v[92:93], v[84:85], s[8:9], -v[80:81]
	v_fma_f64 v[94:95], v[84:85], s[6:7], -v[82:83]
	v_mul_f64 v[86:87], v[90:91], s[26:27]
	v_add_f64 v[100:101], v[0:1], v[88:89]
	v_mul_f64 v[88:89], v[90:91], s[30:31]
	v_add_f64 v[98:99], v[74:75], -v[76:77]
	s_mov_b32 s14, 0xb2365da1
	s_mov_b32 s18, 0xd0032e0c
	;; [unrolled: 1-line block ×6, first 2 shown]
	v_add_f64 v[102:103], v[0:1], v[92:93]
	v_add_f64 v[104:105], v[0:1], v[94:95]
	v_fma_f64 v[94:95], v[84:85], s[14:15], -v[86:87]
	v_fma_f64 v[96:97], v[84:85], s[18:19], -v[88:89]
	v_mul_f64 v[92:93], v[90:91], s[36:37]
	v_add_f64 v[116:117], v[54:55], v[22:23]
	v_mul_f64 v[74:75], v[98:99], s[28:29]
	v_mul_f64 v[76:77], v[98:99], s[26:27]
	;; [unrolled: 1-line block ×3, first 2 shown]
	s_mov_b32 s22, 0x93053d00
	s_mov_b32 s23, 0xbfef11f4
	;; [unrolled: 1-line block ×7, first 2 shown]
	v_add_f64 v[120:121], v[66:67], -v[68:69]
	v_add_f64 v[106:107], v[0:1], v[94:95]
	v_add_f64 v[108:109], v[0:1], v[96:97]
	v_fma_f64 v[110:111], v[84:85], s[22:23], -v[92:93]
	v_fma_f64 v[112:113], v[116:117], s[8:9], -v[74:75]
	;; [unrolled: 1-line block ×4, first 2 shown]
	v_mul_f64 v[94:95], v[98:99], s[40:41]
	v_mul_f64 v[96:97], v[98:99], s[38:39]
	;; [unrolled: 1-line block ×3, first 2 shown]
	v_add_f64 v[146:147], v[52:53], v[16:17]
	v_mul_f64 v[68:69], v[120:121], s[36:37]
	s_mov_b32 s43, 0x3fedeba7
	s_mov_b32 s42, s26
	v_add_f64 v[110:111], v[0:1], v[110:111]
	v_add_f64 v[112:113], v[112:113], v[100:101]
	;; [unrolled: 1-line block ×4, first 2 shown]
	v_fma_f64 v[104:105], v[116:117], s[18:19], -v[94:95]
	v_fma_f64 v[122:123], v[116:117], s[6:7], -v[96:97]
	;; [unrolled: 1-line block ×3, first 2 shown]
	v_mul_f64 v[66:67], v[120:121], s[34:35]
	v_mul_f64 v[100:101], v[120:121], s[42:43]
	;; [unrolled: 1-line block ×3, first 2 shown]
	v_add_f64 v[44:45], v[64:65], -v[44:45]
	v_fma_f64 v[128:129], v[146:147], s[22:23], -v[68:69]
	v_add_f64 v[126:127], v[104:105], v[106:107]
	v_add_f64 v[122:123], v[122:123], v[108:109]
	;; [unrolled: 1-line block ×3, first 2 shown]
	v_fma_f64 v[64:65], v[146:147], s[6:7], -v[66:67]
	v_fma_f64 v[130:131], v[146:147], s[14:15], -v[100:101]
	v_fma_f64 v[132:133], v[146:147], s[16:17], -v[102:103]
	v_mul_f64 v[110:111], v[120:121], s[28:29]
	v_mul_f64 v[108:109], v[120:121], s[30:31]
	v_add_f64 v[150:151], v[50:51], v[24:25]
	v_mul_f64 v[104:105], v[44:45], s[26:27]
	v_mul_f64 v[106:107], v[44:45], s[40:41]
	v_add_f64 v[120:121], v[128:129], v[114:115]
	v_mul_f64 v[114:115], v[44:45], s[34:35]
	s_mov_b32 s35, 0x3fcea1e5
	s_mov_b32 s34, s36
	v_add_f64 v[64:65], v[64:65], v[112:113]
	v_add_f64 v[130:131], v[130:131], v[118:119]
	;; [unrolled: 1-line block ×3, first 2 shown]
	v_fma_f64 v[126:127], v[146:147], s[8:9], -v[110:111]
	v_fma_f64 v[128:129], v[146:147], s[18:19], -v[108:109]
	;; [unrolled: 1-line block ×4, first 2 shown]
	v_mul_f64 v[112:113], v[44:45], s[24:25]
	v_mul_f64 v[118:119], v[44:45], s[34:35]
	v_add_f64 v[46:47], v[62:63], -v[46:47]
	s_mov_b32 s41, 0x3fea55e2
	s_mov_b32 s40, s28
	v_add_f64 v[138:139], v[126:127], v[122:123]
	v_add_f64 v[140:141], v[128:129], v[124:125]
	;; [unrolled: 1-line block ×4, first 2 shown]
	v_fma_f64 v[62:63], v[150:151], s[16:17], -v[112:113]
	v_fma_f64 v[136:137], v[150:151], s[6:7], -v[114:115]
	v_fma_f64 v[142:143], v[150:151], s[22:23], -v[118:119]
	v_mul_f64 v[128:129], v[44:45], s[40:41]
	v_add_f64 v[152:153], v[48:49], v[28:29]
	v_mul_f64 v[120:121], v[46:47], s[30:31]
	v_mul_f64 v[122:123], v[46:47], s[38:39]
	;; [unrolled: 1-line block ×4, first 2 shown]
	v_add_f64 v[44:45], v[62:63], v[130:131]
	v_add_f64 v[62:63], v[136:137], v[132:133]
	v_fma_f64 v[136:137], v[150:151], s[8:9], -v[128:129]
	v_add_f64 v[164:165], v[142:143], v[138:139]
	v_fma_f64 v[138:139], v[152:153], s[18:19], -v[120:121]
	v_fma_f64 v[142:143], v[152:153], s[6:7], -v[122:123]
	v_fma_f64 v[144:145], v[152:153], s[8:9], -v[124:125]
	v_fma_f64 v[148:149], v[152:153], s[22:23], -v[126:127]
	v_mul_f64 v[130:131], v[46:47], s[24:25]
	v_mul_f64 v[132:133], v[46:47], s[26:27]
	v_add_f64 v[58:59], v[58:59], -v[60:61]
	v_add_f64 v[46:47], v[136:137], v[140:141]
	v_add_f64 v[60:61], v[138:139], v[64:65]
	;; [unrolled: 1-line block ×5, first 2 shown]
	v_fma_f64 v[166:167], v[152:153], s[16:17], -v[130:131]
	v_fma_f64 v[168:169], v[152:153], s[14:15], -v[132:133]
	v_add_f64 v[148:149], v[34:35], v[30:31]
	v_mul_f64 v[134:135], v[58:59], s[36:37]
	v_mul_f64 v[136:137], v[58:59], s[24:25]
	;; [unrolled: 1-line block ×6, first 2 shown]
	v_add_f64 v[164:165], v[166:167], v[164:165]
	v_add_f64 v[166:167], v[168:169], v[46:47]
	v_fma_f64 v[46:47], v[148:149], s[22:23], -v[134:135]
	v_fma_f64 v[58:59], v[148:149], s[16:17], -v[136:137]
	;; [unrolled: 1-line block ×6, first 2 shown]
	s_waitcnt lgkmcnt(0)
	s_barrier
	v_add_f64 v[46:47], v[46:47], v[60:61]
	v_add_f64 v[58:59], v[58:59], v[64:65]
	;; [unrolled: 1-line block ×6, first 2 shown]
	s_and_saveexec_b64 s[24:25], s[0:1]
	s_cbranch_execz .LBB0_29
; %bb.28:
	v_add_f64 v[56:57], v[0:1], v[56:57]
	v_mul_f64 v[164:165], v[84:85], s[16:17]
	v_mul_f64 v[166:167], v[84:85], s[8:9]
	;; [unrolled: 1-line block ×7, first 2 shown]
	v_add_f64 v[54:55], v[56:57], v[54:55]
	v_mul_f64 v[56:57], v[116:117], s[14:15]
	v_mul_f64 v[176:177], v[116:117], s[22:23]
	;; [unrolled: 1-line block ×3, first 2 shown]
	v_add_f64 v[78:79], v[78:79], v[164:165]
	v_add_f64 v[80:81], v[80:81], v[166:167]
	;; [unrolled: 1-line block ×5, first 2 shown]
	v_mul_f64 v[180:181], v[116:117], s[6:7]
	v_add_f64 v[84:85], v[92:93], v[84:85]
	v_mul_f64 v[116:117], v[116:117], s[16:17]
	v_mul_f64 v[182:183], v[146:147], s[6:7]
	;; [unrolled: 1-line block ×5, first 2 shown]
	v_add_f64 v[50:51], v[52:53], v[50:51]
	v_add_f64 v[78:79], v[0:1], v[78:79]
	;; [unrolled: 1-line block ×7, first 2 shown]
	v_mul_f64 v[188:189], v[146:147], s[8:9]
	v_add_f64 v[48:49], v[50:51], v[48:49]
	v_mul_f64 v[146:147], v[146:147], s[18:19]
	v_mul_f64 v[190:191], v[150:151], s[14:15]
	;; [unrolled: 1-line block ×5, first 2 shown]
	v_add_f64 v[66:67], v[66:67], v[182:183]
	v_add_f64 v[68:69], v[68:69], v[184:185]
	;; [unrolled: 1-line block ×5, first 2 shown]
	v_mul_f64 v[196:197], v[150:151], s[22:23]
	v_mul_f64 v[150:151], v[150:151], s[8:9]
	v_mul_f64 v[198:199], v[152:153], s[18:19]
	v_mul_f64 v[200:201], v[152:153], s[6:7]
	v_mul_f64 v[202:203], v[152:153], s[8:9]
	v_add_f64 v[30:31], v[34:35], v[30:31]
	v_add_f64 v[34:35], v[0:1], v[48:49]
	;; [unrolled: 1-line block ×7, first 2 shown]
	v_mul_f64 v[204:205], v[152:153], s[22:23]
	v_add_f64 v[28:29], v[30:31], v[28:29]
	v_add_f64 v[52:53], v[114:115], v[52:53]
	;; [unrolled: 1-line block ×19, first 2 shown]
	v_mul_f64 v[50:51], v[152:153], s[16:17]
	v_add_f64 v[34:35], v[78:79], v[34:35]
	v_add_f64 v[74:75], v[118:119], v[196:197]
	v_mul_f64 v[152:153], v[152:153], s[14:15]
	v_add_f64 v[0:1], v[80:81], v[0:1]
	v_add_f64 v[76:77], v[128:129], v[150:151]
	v_mul_f64 v[206:207], v[148:149], s[22:23]
	v_add_f64 v[16:17], v[24:25], v[16:17]
	v_add_f64 v[24:25], v[56:57], v[28:29]
	v_add_f64 v[28:29], v[66:67], v[30:31]
	v_add_f64 v[30:31], v[68:69], v[48:49]
	;; [unrolled: 1-line block ×7, first 2 shown]
	v_mul_f64 v[88:89], v[148:149], s[16:17]
	v_mul_f64 v[92:93], v[148:149], s[18:19]
	v_add_f64 v[34:35], v[74:75], v[34:35]
	v_add_f64 v[50:51], v[130:131], v[50:51]
	v_mul_f64 v[82:83], v[148:149], s[8:9]
	v_mul_f64 v[78:79], v[148:149], s[14:15]
	v_add_f64 v[0:1], v[76:77], v[0:1]
	v_add_f64 v[68:69], v[132:133], v[152:153]
	v_mul_f64 v[74:75], v[148:149], s[6:7]
	v_add_f64 v[16:17], v[16:17], v[22:23]
	v_add_f64 v[22:23], v[52:53], v[24:25]
	;; [unrolled: 1-line block ×19, first 2 shown]
	v_mul_u32_u24_e32 v34, 26, v163
	v_add_f64 v[0:1], v[66:67], v[0:1]
	v_or_b32_e32 v34, v34, v162
	v_lshl_add_u32 v34, v34, 3, 0
	ds_write2_b64 v34, v[16:17], v[20:21] offset1:2
	ds_write2_b64 v34, v[22:23], v[24:25] offset0:4 offset1:6
	ds_write2_b64 v34, v[28:29], v[30:31] offset0:8 offset1:10
	;; [unrolled: 1-line block ×5, first 2 shown]
	ds_write_b64 v34, v[46:47] offset:192
.LBB0_29:
	s_or_b64 exec, exec, s[24:25]
	s_waitcnt lgkmcnt(0)
	s_barrier
	ds_read_b64 v[0:1], v160
	ds_read_b64 v[34:35], v160 offset:2288
	ds_read_b64 v[30:31], v160 offset:4576
	;; [unrolled: 1-line block ×6, first 2 shown]
                                        ; implicit-def: $vgpr16_vgpr17
	s_and_saveexec_b64 s[0:1], s[2:3]
	s_cbranch_execz .LBB0_31
; %bb.30:
	ds_read_b64 v[64:65], v160 offset:3744
	ds_read_b64 v[62:63], v160 offset:6032
	;; [unrolled: 1-line block ×5, first 2 shown]
	ds_read_b64 v[44:45], v161
	ds_read_b64 v[16:17], v160 offset:15184
.LBB0_31:
	s_or_b64 exec, exec, s[0:1]
	s_movk_i32 s0, 0x4f
	v_mul_lo_u16_sdwa v48, v155, s0 dst_sel:DWORD dst_unused:UNUSED_PAD src0_sel:BYTE_0 src1_sel:DWORD
	v_lshrrev_b16_e32 v48, 11, v48
	v_mul_lo_u16_e32 v49, 26, v48
	v_sub_u16_e32 v49, v155, v49
	v_mov_b32_e32 v50, 6
	v_mul_u32_u24_sdwa v50, v49, v50 dst_sel:DWORD dst_unused:UNUSED_PAD src0_sel:BYTE_0 src1_sel:DWORD
	v_lshlrev_b32_e32 v66, 4, v50
	global_load_dwordx4 v[50:53], v66, s[12:13] offset:400
	global_load_dwordx4 v[54:57], v66, s[12:13] offset:384
	;; [unrolled: 1-line block ×6, first 2 shown]
	s_movk_i32 s0, 0x4ec5
	v_mul_u32_u24_sdwa v66, v159, s0 dst_sel:DWORD dst_unused:UNUSED_PAD src0_sel:WORD_0 src1_sel:DWORD
	v_lshrrev_b32_e32 v80, 19, v66
	v_mul_lo_u16_e32 v66, 26, v80
	v_sub_u16_e32 v132, v159, v66
	v_mul_u32_u24_e32 v66, 6, v132
	v_lshlrev_b32_e32 v66, 4, v66
	global_load_dwordx4 v[94:97], v66, s[12:13] offset:384
	global_load_dwordx4 v[98:101], v66, s[12:13] offset:400
	;; [unrolled: 1-line block ×6, first 2 shown]
	v_mov_b32_e32 v66, 3
	v_mul_u32_u24_e32 v48, 0x5b0, v48
	v_lshlrev_b32_sdwa v49, v66, v49 dst_sel:DWORD dst_unused:UNUSED_PAD src0_sel:DWORD src1_sel:BYTE_0
	v_add3_u32 v81, 0, v48, v49
	s_mov_b32 s6, 0x37e14327
	s_mov_b32 s16, 0xe976ee23
	;; [unrolled: 1-line block ×20, first 2 shown]
	s_waitcnt vmcnt(0) lgkmcnt(0)
	s_barrier
	v_mul_f64 v[66:67], v[30:31], v[52:53]
	v_mul_f64 v[48:49], v[34:35], v[56:57]
	;; [unrolled: 1-line block ×12, first 2 shown]
	v_fma_f64 v[48:49], v[40:41], v[54:55], -v[48:49]
	v_fma_f64 v[54:55], v[34:35], v[54:55], v[56:57]
	v_fma_f64 v[52:53], v[36:37], v[50:51], -v[66:67]
	v_fma_f64 v[56:57], v[30:31], v[50:51], v[68:69]
	v_fma_f64 v[50:51], v[42:43], v[86:87], -v[122:123]
	v_fma_f64 v[68:69], v[38:39], v[90:91], -v[120:121]
	;; [unrolled: 1-line block ×3, first 2 shown]
	v_fma_f64 v[74:75], v[24:25], v[74:75], v[76:77]
	v_fma_f64 v[78:79], v[28:29], v[90:91], v[92:93]
	v_fma_f64 v[76:77], v[26:27], v[82:83], -v[118:119]
	v_fma_f64 v[20:21], v[20:21], v[82:83], v[84:85]
	v_fma_f64 v[22:23], v[22:23], v[86:87], v[88:89]
	v_add_f64 v[28:29], v[48:49], v[50:51]
	v_add_f64 v[30:31], v[52:53], v[68:69]
	v_mul_f64 v[124:125], v[64:65], v[96:97]
	v_mul_f64 v[96:97], v[14:15], v[96:97]
	v_add_f64 v[26:27], v[56:57], -v[78:79]
	v_add_f64 v[32:33], v[66:67], v[76:77]
	v_add_f64 v[34:35], v[20:21], -v[74:75]
	v_add_f64 v[42:43], v[54:55], -v[22:23]
	v_mul_f64 v[126:127], v[62:63], v[100:101]
	v_add_f64 v[82:83], v[30:31], v[28:29]
	v_mul_f64 v[100:101], v[12:13], v[100:101]
	v_fma_f64 v[24:25], v[64:65], v[94:95], v[96:97]
	v_mul_f64 v[128:129], v[60:61], v[104:105]
	v_add_f64 v[88:89], v[28:29], -v[32:33]
	v_add_f64 v[90:91], v[34:35], -v[26:27]
	;; [unrolled: 1-line block ×3, first 2 shown]
	v_add_f64 v[92:93], v[34:35], v[26:27]
	v_add_f64 v[82:83], v[32:33], v[82:83]
	v_add_f64 v[32:33], v[32:33], -v[30:31]
	v_add_f64 v[34:35], v[42:43], -v[34:35]
	v_fma_f64 v[26:27], v[12:13], v[98:99], -v[126:127]
	v_mul_f64 v[88:89], v[88:89], s[6:7]
	v_mul_f64 v[90:91], v[90:91], s[16:17]
	;; [unrolled: 1-line block ×3, first 2 shown]
	v_add_f64 v[28:29], v[30:31], -v[28:29]
	v_add_f64 v[18:19], v[18:19], v[82:83]
	v_mul_f64 v[30:31], v[32:33], s[0:1]
	v_add_f64 v[42:43], v[92:93], v[42:43]
	v_mul_f64 v[104:105], v[10:11], v[104:105]
	v_fma_f64 v[32:33], v[32:33], s[0:1], v[88:89]
	v_fma_f64 v[92:93], v[34:35], s[26:27], v[90:91]
	v_fma_f64 v[64:65], v[64:65], s[8:9], -v[90:91]
	v_fma_f64 v[12:13], v[34:35], s[28:29], -v[12:13]
	v_fma_f64 v[34:35], v[82:83], s[14:15], v[18:19]
	v_fma_f64 v[82:83], v[28:29], s[22:23], -v[88:89]
	v_fma_f64 v[88:89], v[28:29], s[18:19], -v[30:31]
	v_mul_f64 v[38:39], v[46:47], v[112:113]
	v_fma_f64 v[30:31], v[62:63], v[98:99], v[100:101]
	v_fma_f64 v[28:29], v[10:11], v[102:103], -v[128:129]
	v_fma_f64 v[10:11], v[42:43], s[24:25], v[92:93]
	v_fma_f64 v[62:63], v[42:43], s[24:25], v[64:65]
	;; [unrolled: 1-line block ×3, first 2 shown]
	v_add_f64 v[42:43], v[32:33], v[34:35]
	v_mul_f64 v[130:131], v[58:59], v[108:109]
	v_mul_f64 v[36:37], v[8:9], v[108:109]
	;; [unrolled: 1-line block ×5, first 2 shown]
	v_add_f64 v[64:65], v[82:83], v[34:35]
	v_add_f64 v[82:83], v[88:89], v[34:35]
	v_fma_f64 v[38:39], v[6:7], v[110:111], -v[38:39]
	v_add_f64 v[6:7], v[10:11], v[42:43]
	v_fma_f64 v[14:15], v[14:15], v[94:95], -v[124:125]
	v_fma_f64 v[32:33], v[60:61], v[102:103], v[104:105]
	v_fma_f64 v[34:35], v[8:9], v[106:107], -v[130:131]
	v_fma_f64 v[36:37], v[58:59], v[106:107], v[36:37]
	v_fma_f64 v[40:41], v[46:47], v[110:111], v[40:41]
	v_add_f64 v[8:9], v[12:13], v[64:65]
	v_add_f64 v[58:59], v[82:83], -v[62:63]
	v_add_f64 v[10:11], v[42:43], -v[10:11]
	v_fma_f64 v[42:43], v[4:5], v[114:115], -v[84:85]
	v_fma_f64 v[46:47], v[16:17], v[114:115], v[86:87]
	v_add_f64 v[60:61], v[62:63], v[82:83]
	v_add_f64 v[12:13], v[64:65], -v[12:13]
	ds_write2_b64 v81, v[18:19], v[6:7] offset1:26
	ds_write2_b64 v81, v[8:9], v[58:59] offset0:52 offset1:78
	ds_write2_b64 v81, v[60:61], v[12:13] offset0:104 offset1:130
	ds_write_b64 v81, v[10:11] offset:1248
	v_lshlrev_b32_e32 v58, 3, v132
	s_and_saveexec_b64 s[30:31], s[2:3]
	s_cbranch_execz .LBB0_33
; %bb.32:
	v_add_f64 v[4:5], v[26:27], v[38:39]
	v_add_f64 v[6:7], v[14:15], v[42:43]
	v_add_f64 v[8:9], v[36:37], -v[32:33]
	v_add_f64 v[10:11], v[30:31], -v[40:41]
	v_add_f64 v[12:13], v[28:29], v[34:35]
	v_add_f64 v[16:17], v[24:25], -v[46:47]
	v_add_f64 v[18:19], v[4:5], v[6:7]
	v_add_f64 v[59:60], v[8:9], -v[10:11]
	v_add_f64 v[61:62], v[6:7], -v[12:13]
	;; [unrolled: 1-line block ×4, first 2 shown]
	v_add_f64 v[10:11], v[8:9], v[10:11]
	v_add_f64 v[8:9], v[16:17], -v[8:9]
	v_add_f64 v[12:13], v[12:13], v[18:19]
	v_add_f64 v[4:5], v[4:5], -v[6:7]
	v_mul_f64 v[6:7], v[59:60], s[16:17]
	v_mul_f64 v[18:19], v[61:62], s[6:7]
	;; [unrolled: 1-line block ×4, first 2 shown]
	v_add_f64 v[10:11], v[10:11], v[16:17]
	v_add_f64 v[2:3], v[2:3], v[12:13]
	v_fma_f64 v[16:17], v[8:9], s[26:27], v[6:7]
	v_fma_f64 v[84:85], v[4:5], s[22:23], -v[18:19]
	v_fma_f64 v[8:9], v[8:9], s[28:29], -v[59:60]
	;; [unrolled: 1-line block ×4, first 2 shown]
	v_fma_f64 v[18:19], v[82:83], s[0:1], v[18:19]
	v_fma_f64 v[12:13], v[12:13], s[14:15], v[2:3]
	;; [unrolled: 1-line block ×5, first 2 shown]
	v_add_f64 v[10:11], v[84:85], v[12:13]
	v_add_f64 v[4:5], v[4:5], v[12:13]
	;; [unrolled: 1-line block ×3, first 2 shown]
	v_add_f64 v[18:19], v[10:11], -v[8:9]
	v_add_f64 v[59:60], v[4:5], -v[6:7]
	v_add_f64 v[61:62], v[16:17], v[12:13]
	v_add_f64 v[8:9], v[8:9], v[10:11]
	;; [unrolled: 1-line block ×3, first 2 shown]
	v_add_f64 v[6:7], v[12:13], -v[16:17]
	v_mul_lo_u16_e32 v10, 0xb6, v80
	v_lshlrev_b32_e32 v10, 3, v10
	v_add3_u32 v10, 0, v58, v10
	ds_write2_b64 v10, v[2:3], v[61:62] offset1:26
	ds_write2_b64 v10, v[8:9], v[59:60] offset0:52 offset1:78
	ds_write2_b64 v10, v[4:5], v[18:19] offset0:104 offset1:130
	ds_write_b64 v10, v[6:7] offset:1248
.LBB0_33:
	s_or_b64 exec, exec, s[30:31]
	v_add_f64 v[2:3], v[54:55], v[22:23]
	v_add_f64 v[4:5], v[56:57], v[78:79]
	v_add_f64 v[6:7], v[52:53], -v[68:69]
	v_add_f64 v[8:9], v[74:75], v[20:21]
	v_add_f64 v[10:11], v[76:77], -v[66:67]
	v_add_f64 v[12:13], v[48:49], -v[50:51]
	s_waitcnt lgkmcnt(0)
	s_barrier
	v_add_f64 v[16:17], v[4:5], v[2:3]
	v_lshl_add_u32 v50, v158, 3, 0
	v_add_f64 v[18:19], v[2:3], -v[8:9]
	v_add_f64 v[20:21], v[10:11], -v[6:7]
	;; [unrolled: 1-line block ×3, first 2 shown]
	v_add_f64 v[6:7], v[10:11], v[6:7]
	v_add_f64 v[10:11], v[12:13], -v[10:11]
	v_add_f64 v[16:17], v[8:9], v[16:17]
	v_add_f64 v[8:9], v[8:9], -v[4:5]
	v_mul_f64 v[18:19], v[18:19], s[6:7]
	v_mul_f64 v[20:21], v[20:21], s[16:17]
	;; [unrolled: 1-line block ×3, first 2 shown]
	v_add_f64 v[51:52], v[0:1], v[16:17]
	v_add_f64 v[0:1], v[4:5], -v[2:3]
	v_mul_f64 v[2:3], v[8:9], s[0:1]
	v_add_f64 v[4:5], v[6:7], v[12:13]
	v_fma_f64 v[6:7], v[8:9], s[0:1], v[18:19]
	v_fma_f64 v[8:9], v[10:11], s[26:27], v[20:21]
	v_fma_f64 v[12:13], v[22:23], s[8:9], -v[20:21]
	v_fma_f64 v[10:11], v[10:11], s[28:29], -v[48:49]
	v_fma_f64 v[16:17], v[16:17], s[14:15], v[51:52]
	v_fma_f64 v[18:19], v[0:1], s[22:23], -v[18:19]
	v_fma_f64 v[0:1], v[0:1], s[18:19], -v[2:3]
	v_lshl_add_u32 v48, v156, 3, 0
	v_lshl_add_u32 v49, v157, 3, 0
	v_fma_f64 v[2:3], v[4:5], s[24:25], v[8:9]
	v_fma_f64 v[8:9], v[4:5], s[24:25], v[12:13]
	;; [unrolled: 1-line block ×3, first 2 shown]
	v_add_f64 v[6:7], v[6:7], v[16:17]
	v_add_f64 v[10:11], v[18:19], v[16:17]
	;; [unrolled: 1-line block ×3, first 2 shown]
	ds_read_b64 v[18:19], v161
	ds_read_b64 v[12:13], v160
	;; [unrolled: 1-line block ×5, first 2 shown]
	v_add_f64 v[53:54], v[6:7], -v[2:3]
	v_add_f64 v[55:56], v[10:11], -v[4:5]
	v_add_f64 v[59:60], v[8:9], v[0:1]
	v_add_f64 v[61:62], v[0:1], -v[8:9]
	v_add_u32_e32 v0, 0x1c00, v160
	v_add_f64 v[63:64], v[4:5], v[10:11]
	ds_read2_b64 v[8:11], v0 offset0:14 offset1:196
	v_add_u32_e32 v0, 0x2600, v160
	v_add_f64 v[65:66], v[2:3], v[6:7]
	ds_read2_b64 v[4:7], v0 offset0:58 offset1:240
	v_add_u32_e32 v0, 0x3200, v160
	ds_read2_b64 v[0:3], v0 offset0:38 offset1:220
	s_waitcnt lgkmcnt(0)
	s_barrier
	ds_write2_b64 v81, v[51:52], v[53:54] offset1:26
	ds_write2_b64 v81, v[55:56], v[59:60] offset0:52 offset1:78
	ds_write2_b64 v81, v[61:62], v[63:64] offset0:104 offset1:130
	ds_write_b64 v81, v[65:66] offset:1248
	s_and_saveexec_b64 s[0:1], s[2:3]
	s_cbranch_execz .LBB0_35
; %bb.34:
	v_add_f64 v[24:25], v[24:25], v[46:47]
	v_add_f64 v[30:31], v[30:31], v[40:41]
	;; [unrolled: 1-line block ×3, first 2 shown]
	v_add_f64 v[28:29], v[34:35], -v[28:29]
	v_add_f64 v[26:27], v[26:27], -v[38:39]
	;; [unrolled: 1-line block ×3, first 2 shown]
	s_mov_b32 s6, 0x36b3c0b5
	s_mov_b32 s2, 0x37e14327
	;; [unrolled: 1-line block ×3, first 2 shown]
	v_add_f64 v[34:35], v[30:31], v[24:25]
	v_add_f64 v[36:37], v[24:25], -v[32:33]
	s_mov_b32 s3, 0x3fe948f6
	v_add_f64 v[38:39], v[28:29], v[26:27]
	v_add_f64 v[40:41], v[28:29], -v[26:27]
	v_add_f64 v[26:27], v[26:27], -v[14:15]
	s_mov_b32 s8, 0xe976ee23
	v_add_f64 v[24:25], v[30:31], -v[24:25]
	v_add_f64 v[34:35], v[32:33], v[34:35]
	v_add_f64 v[32:33], v[32:33], -v[30:31]
	s_mov_b32 s9, 0xbfe11646
	s_mov_b32 s14, 0x429ad128
	v_mul_f64 v[36:37], v[36:37], s[2:3]
	s_mov_b32 s15, 0x3febfeb5
	v_add_f64 v[28:29], v[14:15], -v[28:29]
	v_add_f64 v[14:15], v[38:39], v[14:15]
	v_add_f64 v[42:43], v[44:45], v[34:35]
	v_mul_f64 v[30:31], v[32:33], s[6:7]
	v_mul_f64 v[38:39], v[40:41], s[8:9]
	v_mul_f64 v[40:41], v[26:27], s[14:15]
	s_mov_b32 s3, 0x3fe77f67
	s_mov_b32 s2, 0x5476071b
	;; [unrolled: 1-line block ×4, first 2 shown]
	v_fma_f64 v[32:33], v[32:33], s[6:7], v[36:37]
	v_fma_f64 v[30:31], v[24:25], s[2:3], -v[30:31]
	s_mov_b32 s3, 0xbfe77f67
	v_fma_f64 v[24:25], v[24:25], s[2:3], -v[36:37]
	s_mov_b32 s3, 0x3fd5d0dc
	s_mov_b32 s2, 0xb247c609
	v_fma_f64 v[34:35], v[34:35], s[16:17], v[42:43]
	v_fma_f64 v[36:37], v[28:29], s[2:3], v[38:39]
	s_mov_b32 s3, 0xbfd5d0dc
	v_fma_f64 v[28:29], v[28:29], s[2:3], -v[40:41]
	v_fma_f64 v[26:27], v[26:27], s[14:15], -v[38:39]
	s_mov_b32 s2, 0x37c3f68c
	s_mov_b32 s3, 0x3fdc38aa
	v_add_f64 v[32:33], v[32:33], v[34:35]
	v_add_f64 v[30:31], v[30:31], v[34:35]
	;; [unrolled: 1-line block ×3, first 2 shown]
	v_fma_f64 v[34:35], v[14:15], s[2:3], v[36:37]
	v_fma_f64 v[28:29], v[14:15], s[2:3], v[28:29]
	;; [unrolled: 1-line block ×3, first 2 shown]
	v_add_f64 v[26:27], v[32:33], -v[34:35]
	v_add_f64 v[36:37], v[24:25], -v[28:29]
	v_add_f64 v[38:39], v[14:15], v[30:31]
	v_add_f64 v[14:15], v[30:31], -v[14:15]
	v_add_f64 v[24:25], v[28:29], v[24:25]
	v_add_f64 v[28:29], v[34:35], v[32:33]
	v_mul_lo_u16_e32 v30, 0xb6, v80
	v_lshlrev_b32_e32 v30, 3, v30
	v_add3_u32 v30, 0, v58, v30
	ds_write2_b64 v30, v[42:43], v[26:27] offset1:26
	ds_write2_b64 v30, v[36:37], v[38:39] offset0:52 offset1:78
	ds_write2_b64 v30, v[14:15], v[24:25] offset0:104 offset1:130
	ds_write_b64 v30, v[28:29] offset:1248
.LBB0_35:
	s_or_b64 exec, exec, s[0:1]
	s_waitcnt lgkmcnt(0)
	s_barrier
	s_and_saveexec_b64 s[0:1], vcc
	s_cbranch_execz .LBB0_37
; %bb.36:
	v_mul_u32_u24_e32 v14, 10, v155
	v_lshlrev_b32_e32 v14, 4, v14
	global_load_dwordx4 v[24:27], v14, s[12:13] offset:2944
	global_load_dwordx4 v[28:31], v14, s[12:13] offset:2960
	;; [unrolled: 1-line block ×10, first 2 shown]
	ds_read_b64 v[67:68], v50
	ds_read_b64 v[86:87], v49
	;; [unrolled: 1-line block ×5, first 2 shown]
	v_add_u32_e32 v32, 0x1c00, v160
	v_add_u32_e32 v40, 0x2600, v160
	;; [unrolled: 1-line block ×3, first 2 shown]
	ds_read2_b64 v[32:35], v32 offset0:14 offset1:196
	ds_read2_b64 v[46:49], v40 offset0:58 offset1:240
	;; [unrolled: 1-line block ×3, first 2 shown]
	v_mul_lo_u32 v120, s4, v73
	s_mov_b32 s12, 0x9bcd5057
	s_mov_b32 s13, 0xbfeeb42a
	;; [unrolled: 1-line block ×30, first 2 shown]
	v_mul_lo_u32 v69, s5, v72
	s_waitcnt vmcnt(9)
	v_mul_f64 v[40:41], v[8:9], v[26:27]
	s_waitcnt vmcnt(8)
	v_mul_f64 v[92:93], v[10:11], v[30:31]
	;; [unrolled: 2-line block ×3, first 2 shown]
	s_waitcnt lgkmcnt(7)
	v_mul_f64 v[98:99], v[67:68], v[38:39]
	s_waitcnt vmcnt(5)
	v_mul_f64 v[100:101], v[16:17], v[53:54]
	s_waitcnt lgkmcnt(6)
	v_mul_f64 v[53:54], v[86:87], v[53:54]
	s_waitcnt lgkmcnt(2)
	v_mul_f64 v[26:27], v[32:33], v[26:27]
	s_waitcnt vmcnt(2)
	v_mul_f64 v[106:107], v[0:1], v[65:66]
	s_waitcnt vmcnt(1)
	;; [unrolled: 2-line block ×3, first 2 shown]
	v_mul_f64 v[110:111], v[2:3], v[80:81]
	v_mul_f64 v[30:31], v[34:35], v[30:31]
	;; [unrolled: 1-line block ×3, first 2 shown]
	s_waitcnt lgkmcnt(1)
	v_mul_f64 v[57:58], v[48:49], v[57:58]
	v_mul_f64 v[104:105], v[20:21], v[61:62]
	;; [unrolled: 1-line block ×3, first 2 shown]
	s_waitcnt lgkmcnt(0)
	v_mul_f64 v[65:66], v[82:83], v[65:66]
	v_mul_f64 v[76:77], v[90:91], v[76:77]
	;; [unrolled: 1-line block ×3, first 2 shown]
	v_fma_f64 v[34:35], v[34:35], v[28:29], v[92:93]
	v_fma_f64 v[92:93], v[67:68], v[36:37], v[94:95]
	v_fma_f64 v[94:95], v[22:23], v[36:37], -v[98:99]
	v_fma_f64 v[67:68], v[86:87], v[51:52], v[100:101]
	v_fma_f64 v[86:87], v[16:17], v[51:52], -v[53:54]
	v_fma_f64 v[22:23], v[82:83], v[63:64], v[106:107]
	v_fma_f64 v[82:83], v[90:91], v[74:75], v[108:109]
	;; [unrolled: 1-line block ×3, first 2 shown]
	v_mul_f64 v[96:97], v[4:5], v[44:45]
	v_fma_f64 v[40:41], v[32:33], v[24:25], v[40:41]
	v_fma_f64 v[38:39], v[8:9], v[24:25], -v[26:27]
	v_fma_f64 v[24:25], v[6:7], v[55:56], -v[57:58]
	v_fma_f64 v[88:89], v[88:89], v[59:60], v[104:105]
	v_fma_f64 v[58:59], v[20:21], v[59:60], -v[61:62]
	v_fma_f64 v[60:61], v[18:19], v[74:75], -v[76:77]
	;; [unrolled: 1-line block ×3, first 2 shown]
	v_add_f64 v[73:74], v[82:83], v[16:17]
	v_mul_f64 v[44:45], v[46:47], v[44:45]
	v_fma_f64 v[32:33], v[10:11], v[28:29], -v[30:31]
	v_fma_f64 v[30:31], v[46:47], v[42:43], v[96:97]
	v_fma_f64 v[26:27], v[48:49], v[55:56], v[102:103]
	v_fma_f64 v[20:21], v[0:1], v[63:64], -v[65:66]
	v_add_f64 v[79:80], v[88:89], v[22:23]
	v_add_f64 v[84:85], v[82:83], -v[16:17]
	v_add_f64 v[96:97], v[60:61], -v[18:19]
	v_mul_f64 v[0:1], v[73:74], s[12:13]
	v_fma_f64 v[28:29], v[4:5], v[42:43], -v[44:45]
	v_add_f64 v[100:101], v[88:89], -v[22:23]
	v_add_f64 v[75:76], v[67:68], v[26:27]
	v_add_f64 v[90:91], v[58:59], -v[20:21]
	v_add_f64 v[102:103], v[60:61], v[18:19]
	v_mul_f64 v[2:3], v[84:85], s[26:27]
	v_mul_f64 v[4:5], v[79:80], s[14:15]
	v_fma_f64 v[6:7], v[96:97], s[28:29], v[0:1]
	v_add_f64 v[64:65], v[92:93], v[30:31]
	v_add_f64 v[77:78], v[86:87], -v[24:25]
	v_add_f64 v[106:107], v[67:68], -v[26:27]
	v_add_f64 v[108:109], v[58:59], v[20:21]
	v_mul_f64 v[8:9], v[100:101], s[34:35]
	v_fma_f64 v[10:11], v[102:103], s[12:13], v[2:3]
	v_mul_f64 v[46:47], v[75:76], s[0:1]
	v_fma_f64 v[48:49], v[90:91], s[18:19], v[4:5]
	v_add_f64 v[6:7], v[14:15], v[6:7]
	v_fma_f64 v[0:1], v[96:97], s[26:27], v[0:1]
	v_add_f64 v[62:63], v[40:41], v[34:35]
	v_add_f64 v[44:45], v[94:95], -v[28:29]
	v_add_f64 v[110:111], v[92:93], -v[30:31]
	v_add_f64 v[112:113], v[86:87], v[24:25]
	v_mul_f64 v[50:51], v[106:107], s[24:25]
	v_fma_f64 v[52:53], v[108:109], s[14:15], v[8:9]
	v_add_f64 v[10:11], v[12:13], v[10:11]
	v_mul_f64 v[54:55], v[64:65], s[6:7]
	v_fma_f64 v[56:57], v[77:78], s[16:17], v[46:47]
	v_add_f64 v[6:7], v[48:49], v[6:7]
	v_fma_f64 v[4:5], v[90:91], s[34:35], v[4:5]
	v_add_f64 v[0:1], v[14:15], v[0:1]
	v_add_f64 v[36:37], v[38:39], -v[32:33]
	v_add_f64 v[98:99], v[40:41], -v[34:35]
	v_add_f64 v[104:105], v[94:95], v[28:29]
	v_mul_f64 v[48:49], v[110:111], s[36:37]
	v_fma_f64 v[114:115], v[112:113], s[0:1], v[50:51]
	v_add_f64 v[10:11], v[52:53], v[10:11]
	v_mul_f64 v[52:53], v[62:63], s[2:3]
	v_fma_f64 v[116:117], v[44:45], s[8:9], v[54:55]
	v_add_f64 v[6:7], v[56:57], v[6:7]
	v_fma_f64 v[46:47], v[77:78], s[24:25], v[46:47]
	v_add_f64 v[0:1], v[4:5], v[0:1]
	v_add_f64 v[42:43], v[38:39], v[32:33]
	v_mul_f64 v[56:57], v[98:99], s[22:23]
	v_fma_f64 v[118:119], v[104:105], s[6:7], v[48:49]
	v_add_f64 v[4:5], v[114:115], v[10:11]
	v_fma_f64 v[10:11], v[36:37], s[30:31], v[52:53]
	v_add_f64 v[6:7], v[116:117], v[6:7]
	v_fma_f64 v[54:55], v[44:45], s[36:37], v[54:55]
	v_fma_f64 v[2:3], v[102:103], s[12:13], -v[2:3]
	v_add_f64 v[0:1], v[46:47], v[0:1]
	v_fma_f64 v[46:47], v[42:43], s[2:3], v[56:57]
	v_fma_f64 v[52:53], v[36:37], s[22:23], v[52:53]
	v_add_f64 v[4:5], v[118:119], v[4:5]
	v_fma_f64 v[8:9], v[108:109], s[14:15], -v[8:9]
	v_mul_f64 v[116:117], v[73:74], s[0:1]
	v_mad_u64_u32 v[114:115], s[4:5], s4, v72, 0
	v_add_f64 v[118:119], v[12:13], v[2:3]
	v_add_f64 v[54:55], v[54:55], v[0:1]
	;; [unrolled: 1-line block ×3, first 2 shown]
	v_mul_f64 v[10:11], v[84:85], s[24:25]
	v_add_f64 v[0:1], v[46:47], v[4:5]
	v_fma_f64 v[4:5], v[112:113], s[0:1], -v[50:51]
	v_mul_f64 v[46:47], v[79:80], s[2:3]
	v_fma_f64 v[50:51], v[96:97], s[16:17], v[116:117]
	v_add_f64 v[8:9], v[8:9], v[118:119]
	v_add_f64 v[6:7], v[52:53], v[54:55]
	v_mul_f64 v[54:55], v[100:101], s[30:31]
	v_fma_f64 v[118:119], v[102:103], s[0:1], v[10:11]
	v_add3_u32 v115, v115, v120, v69
	v_fma_f64 v[48:49], v[104:105], s[6:7], -v[48:49]
	v_mul_f64 v[52:53], v[75:76], s[14:15]
	v_fma_f64 v[120:121], v[90:91], s[22:23], v[46:47]
	v_add_f64 v[50:51], v[14:15], v[50:51]
	v_add_f64 v[4:5], v[4:5], v[8:9]
	v_mul_f64 v[122:123], v[106:107], s[18:19]
	v_fma_f64 v[124:125], v[108:109], s[2:3], v[54:55]
	v_add_f64 v[118:119], v[12:13], v[118:119]
	v_fma_f64 v[8:9], v[42:43], s[2:3], -v[56:57]
	v_mul_f64 v[56:57], v[64:65], s[12:13]
	v_fma_f64 v[126:127], v[77:78], s[34:35], v[52:53]
	v_add_f64 v[50:51], v[120:121], v[50:51]
	v_add_f64 v[4:5], v[48:49], v[4:5]
	v_mul_f64 v[48:49], v[110:111], s[26:27]
	v_fma_f64 v[128:129], v[112:113], s[14:15], v[122:123]
	v_fma_f64 v[116:117], v[96:97], s[24:25], v[116:117]
	v_add_f64 v[118:119], v[124:125], v[118:119]
	v_mul_f64 v[120:121], v[62:63], s[6:7]
	v_fma_f64 v[124:125], v[44:45], s[28:29], v[56:57]
	v_add_f64 v[50:51], v[126:127], v[50:51]
	v_mul_f64 v[126:127], v[98:99], s[36:37]
	v_fma_f64 v[130:131], v[104:105], s[12:13], v[48:49]
	v_fma_f64 v[46:47], v[90:91], s[30:31], v[46:47]
	v_fma_f64 v[10:11], v[102:103], s[0:1], -v[10:11]
	v_add_f64 v[116:117], v[14:15], v[116:117]
	v_add_f64 v[118:119], v[128:129], v[118:119]
	v_fma_f64 v[128:129], v[36:37], s[8:9], v[120:121]
	v_add_f64 v[50:51], v[124:125], v[50:51]
	v_fma_f64 v[124:125], v[42:43], s[6:7], v[126:127]
	v_fma_f64 v[52:53], v[77:78], s[18:19], v[52:53]
	v_fma_f64 v[54:55], v[108:109], s[2:3], -v[54:55]
	v_add_f64 v[132:133], v[12:13], v[10:11]
	v_add_f64 v[46:47], v[46:47], v[116:117]
	v_add_f64 v[116:117], v[130:131], v[118:119]
	v_mul_f64 v[118:119], v[73:74], s[2:3]
	v_add_f64 v[4:5], v[8:9], v[4:5]
	v_add_f64 v[10:11], v[128:129], v[50:51]
	v_fma_f64 v[50:51], v[44:45], s[26:27], v[56:57]
	v_fma_f64 v[56:57], v[112:113], s[14:15], -v[122:123]
	v_add_f64 v[54:55], v[54:55], v[132:133]
	v_add_f64 v[46:47], v[52:53], v[46:47]
	;; [unrolled: 1-line block ×3, first 2 shown]
	v_fma_f64 v[52:53], v[36:37], s[36:37], v[120:121]
	v_mul_f64 v[116:117], v[84:85], s[22:23]
	v_mul_f64 v[120:121], v[79:80], s[12:13]
	v_fma_f64 v[122:123], v[96:97], s[30:31], v[118:119]
	v_fma_f64 v[48:49], v[104:105], s[12:13], -v[48:49]
	v_add_f64 v[54:55], v[56:57], v[54:55]
	v_add_f64 v[46:47], v[50:51], v[46:47]
	v_fma_f64 v[50:51], v[42:43], s[6:7], -v[126:127]
	v_mul_f64 v[56:57], v[100:101], s[28:29]
	v_fma_f64 v[124:125], v[102:103], s[2:3], v[116:117]
	v_mul_f64 v[126:127], v[75:76], s[6:7]
	v_fma_f64 v[128:129], v[90:91], s[26:27], v[120:121]
	v_add_f64 v[122:123], v[14:15], v[122:123]
	v_add_f64 v[54:55], v[48:49], v[54:55]
	;; [unrolled: 1-line block ×3, first 2 shown]
	v_mul_f64 v[130:131], v[106:107], s[36:37]
	v_fma_f64 v[52:53], v[108:109], s[12:13], v[56:57]
	v_add_f64 v[124:125], v[12:13], v[124:125]
	v_mul_f64 v[132:133], v[64:65], s[14:15]
	v_fma_f64 v[134:135], v[77:78], s[8:9], v[126:127]
	v_add_f64 v[122:123], v[128:129], v[122:123]
	v_add_f64 v[46:47], v[50:51], v[54:55]
	v_mul_f64 v[54:55], v[62:63], s[0:1]
	v_mul_f64 v[128:129], v[110:111], s[18:19]
	v_fma_f64 v[50:51], v[112:113], s[6:7], v[130:131]
	v_add_f64 v[52:53], v[52:53], v[124:125]
	v_fma_f64 v[124:125], v[44:45], s[34:35], v[132:133]
	v_fma_f64 v[118:119], v[96:97], s[22:23], v[118:119]
	v_add_f64 v[122:123], v[134:135], v[122:123]
	v_fma_f64 v[116:117], v[102:103], s[2:3], -v[116:117]
	v_mul_f64 v[134:135], v[98:99], s[24:25]
	v_fma_f64 v[136:137], v[36:37], s[16:17], v[54:55]
	v_fma_f64 v[138:139], v[104:105], s[14:15], v[128:129]
	v_add_f64 v[50:51], v[50:51], v[52:53]
	v_fma_f64 v[52:53], v[90:91], s[28:29], v[120:121]
	v_add_f64 v[118:119], v[14:15], v[118:119]
	v_add_f64 v[120:121], v[124:125], v[122:123]
	v_mul_f64 v[124:125], v[73:74], s[6:7]
	v_fma_f64 v[56:57], v[108:109], s[12:13], -v[56:57]
	v_add_f64 v[116:117], v[12:13], v[116:117]
	v_fma_f64 v[122:123], v[42:43], s[0:1], v[134:135]
	v_add_f64 v[50:51], v[138:139], v[50:51]
	v_fma_f64 v[126:127], v[77:78], s[36:37], v[126:127]
	v_add_f64 v[118:119], v[52:53], v[118:119]
	v_add_f64 v[52:53], v[136:137], v[120:121]
	v_mul_f64 v[120:121], v[79:80], s[0:1]
	v_fma_f64 v[136:137], v[96:97], s[36:37], v[124:125]
	v_fma_f64 v[130:131], v[112:113], s[6:7], -v[130:131]
	v_add_f64 v[56:57], v[56:57], v[116:117]
	v_fma_f64 v[124:125], v[96:97], s[8:9], v[124:125]
	v_add_f64 v[50:51], v[122:123], v[50:51]
	v_fma_f64 v[116:117], v[44:45], s[18:19], v[132:133]
	v_add_f64 v[118:119], v[126:127], v[118:119]
	v_mul_f64 v[122:123], v[75:76], s[12:13]
	v_fma_f64 v[126:127], v[90:91], s[16:17], v[120:121]
	v_add_f64 v[132:133], v[14:15], v[136:137]
	v_fma_f64 v[128:129], v[104:105], s[14:15], -v[128:129]
	v_add_f64 v[56:57], v[130:131], v[56:57]
	v_mul_f64 v[130:131], v[84:85], s[8:9]
	v_fma_f64 v[120:121], v[90:91], s[24:25], v[120:121]
	v_add_f64 v[124:125], v[14:15], v[124:125]
	v_fma_f64 v[54:55], v[36:37], s[24:25], v[54:55]
	v_add_f64 v[116:117], v[116:117], v[118:119]
	v_mul_f64 v[118:119], v[64:65], s[2:3]
	v_fma_f64 v[136:137], v[77:78], s[26:27], v[122:123]
	v_add_f64 v[126:127], v[126:127], v[132:133]
	v_fma_f64 v[132:133], v[42:43], s[0:1], -v[134:135]
	v_add_f64 v[128:129], v[128:129], v[56:57]
	v_mul_f64 v[134:135], v[100:101], s[24:25]
	v_fma_f64 v[138:139], v[102:103], s[6:7], v[130:131]
	v_fma_f64 v[122:123], v[77:78], s[28:29], v[122:123]
	v_add_f64 v[120:121], v[120:121], v[124:125]
	v_add_f64 v[81:82], v[14:15], v[82:83]
	v_add_f64 v[56:57], v[54:55], v[116:117]
	v_fma_f64 v[140:141], v[44:45], s[22:23], v[118:119]
	v_add_f64 v[126:127], v[136:137], v[126:127]
	v_mul_f64 v[136:137], v[106:107], s[28:29]
	v_add_f64 v[54:55], v[132:133], v[128:129]
	v_fma_f64 v[128:129], v[108:109], s[0:1], v[134:135]
	v_add_f64 v[132:133], v[12:13], v[138:139]
	v_mul_f64 v[72:73], v[73:74], s[14:15]
	v_fma_f64 v[118:119], v[44:45], s[30:31], v[118:119]
	v_add_f64 v[120:121], v[122:123], v[120:121]
	v_add_f64 v[60:61], v[12:13], v[60:61]
	;; [unrolled: 1-line block ×3, first 2 shown]
	v_mul_f64 v[144:145], v[110:111], s[30:31]
	v_add_f64 v[126:127], v[140:141], v[126:127]
	v_fma_f64 v[140:141], v[112:113], s[12:13], v[136:137]
	v_add_f64 v[128:129], v[128:129], v[132:133]
	v_fma_f64 v[130:131], v[102:103], s[6:7], -v[130:131]
	v_mul_f64 v[79:80], v[79:80], s[6:7]
	v_fma_f64 v[148:149], v[96:97], s[34:35], v[72:73]
	v_add_f64 v[88:89], v[118:119], v[120:121]
	v_add_f64 v[120:121], v[58:59], v[60:61]
	v_add_f64 v[66:67], v[67:68], v[81:82]
	v_fma_f64 v[146:147], v[104:105], s[2:3], v[144:145]
	v_add_f64 v[128:129], v[140:141], v[128:129]
	v_fma_f64 v[134:135], v[108:109], s[0:1], -v[134:135]
	v_add_f64 v[130:131], v[12:13], v[130:131]
	v_mul_f64 v[74:75], v[75:76], s[2:3]
	v_fma_f64 v[140:141], v[90:91], s[36:37], v[79:80]
	v_add_f64 v[148:149], v[14:15], v[148:149]
	v_mul_f64 v[81:82], v[84:85], s[18:19]
	v_add_f64 v[83:84], v[86:87], v[120:121]
	v_add_f64 v[66:67], v[92:93], v[66:67]
	v_mul_f64 v[116:117], v[62:63], s[14:15]
	v_add_f64 v[124:125], v[146:147], v[128:129]
	v_fma_f64 v[128:129], v[112:113], s[12:13], -v[136:137]
	v_add_f64 v[130:131], v[134:135], v[130:131]
	v_mul_f64 v[134:135], v[64:65], s[0:1]
	v_fma_f64 v[64:65], v[77:78], s[30:31], v[74:75]
	v_add_f64 v[136:137], v[140:141], v[148:149]
	v_add_f64 v[83:84], v[94:95], v[83:84]
	v_fma_f64 v[72:73], v[96:97], s[18:19], v[72:73]
	v_add_f64 v[40:41], v[40:41], v[66:67]
	v_fma_f64 v[142:143], v[36:37], s[18:19], v[116:117]
	v_add_f64 v[128:129], v[128:129], v[130:131]
	v_mul_f64 v[130:131], v[62:63], s[12:13]
	v_fma_f64 v[62:63], v[44:45], s[16:17], v[134:135]
	v_add_f64 v[64:65], v[64:65], v[136:137]
	v_fma_f64 v[116:117], v[36:37], s[34:35], v[116:117]
	v_add_f64 v[38:39], v[38:39], v[83:84]
	;; [unrolled: 2-line block ×3, first 2 shown]
	v_add_f64 v[34:35], v[34:35], v[40:41]
	v_fma_f64 v[92:93], v[102:103], s[14:15], v[81:82]
	v_fma_f64 v[81:82], v[102:103], s[14:15], -v[81:82]
	v_add_f64 v[136:137], v[62:63], v[64:65]
	v_add_f64 v[64:65], v[116:117], v[88:89]
	v_mul_f64 v[87:88], v[100:101], s[8:9]
	v_add_f64 v[32:33], v[32:33], v[38:39]
	v_fma_f64 v[38:39], v[77:78], s[22:23], v[74:75]
	v_add_f64 v[14:15], v[79:80], v[14:15]
	v_add_f64 v[30:31], v[30:31], v[34:35]
	v_mul_f64 v[96:97], v[106:107], s[22:23]
	v_add_f64 v[92:93], v[12:13], v[92:93]
	v_add_f64 v[12:13], v[12:13], v[81:82]
	v_fma_f64 v[72:73], v[108:109], s[6:7], -v[87:88]
	v_add_f64 v[28:29], v[28:29], v[32:33]
	v_fma_f64 v[32:33], v[44:45], s[24:25], v[134:135]
	v_add_f64 v[14:15], v[38:39], v[14:15]
	v_add_f64 v[26:27], v[26:27], v[30:31]
	v_mul_f64 v[94:95], v[110:111], s[24:25]
	v_fma_f64 v[74:75], v[112:113], s[2:3], -v[96:97]
	v_mul_f64 v[85:86], v[98:99], s[26:27]
	v_add_f64 v[12:13], v[72:73], v[12:13]
	v_add_f64 v[24:25], v[24:25], v[28:29]
	v_fma_f64 v[28:29], v[36:37], s[26:27], v[130:131]
	v_add_f64 v[14:15], v[32:33], v[14:15]
	v_add_f64 v[22:23], v[22:23], v[26:27]
	v_fma_f64 v[38:39], v[104:105], s[0:1], -v[94:95]
	v_fma_f64 v[34:35], v[104:105], s[0:1], v[94:95]
	v_mad_u64_u32 v[26:27], s[0:1], s20, v154, 0
	v_add_f64 v[12:13], v[74:75], v[12:13]
	v_add_f64 v[24:25], v[20:21], v[24:25]
	v_mov_b32_e32 v20, v27
	v_add_f64 v[14:15], v[28:29], v[14:15]
	v_mad_u64_u32 v[27:28], s[0:1], s21, v154, v[20:21]
	v_add_f64 v[20:21], v[16:17], v[22:23]
	v_lshlrev_b64 v[16:17], 4, v[114:115]
	v_fma_f64 v[32:33], v[42:43], s[12:13], -v[85:86]
	v_add_f64 v[12:13], v[38:39], v[12:13]
	v_mov_b32_e32 v22, s11
	v_add_co_u32_e32 v23, vcc, s10, v16
	v_addc_co_u32_e32 v22, vcc, v22, v17, vcc
	v_lshlrev_b64 v[16:17], 4, v[70:71]
	v_mul_f64 v[138:139], v[98:99], s[34:35]
	v_fma_f64 v[122:123], v[104:105], s[2:3], -v[144:145]
	v_add_f64 v[18:19], v[18:19], v[24:25]
	v_add_co_u32_e32 v28, vcc, v23, v16
	v_add_u32_e32 v24, 0xb6, v154
	v_addc_co_u32_e32 v29, vcc, v22, v17, vcc
	v_mad_u64_u32 v[22:23], s[0:1], s20, v24, 0
	v_add_f64 v[12:13], v[32:33], v[12:13]
	v_lshlrev_b64 v[16:17], 4, v[26:27]
	v_mad_u64_u32 v[23:24], s[0:1], s21, v24, v[23:24]
	v_fma_f64 v[118:119], v[42:43], s[14:15], -v[138:139]
	v_add_f64 v[122:123], v[122:123], v[128:129]
	v_add_co_u32_e32 v16, vcc, v28, v16
	v_addc_co_u32_e32 v17, vcc, v29, v17, vcc
	v_add_u32_e32 v26, 0x16c, v154
	v_mad_u64_u32 v[24:25], s[0:1], s20, v26, 0
	global_store_dwordx4 v[16:17], v[18:21], off
	v_lshlrev_b64 v[16:17], 4, v[22:23]
	v_mov_b32_e32 v18, v25
	v_add_co_u32_e32 v16, vcc, v28, v16
	v_addc_co_u32_e32 v17, vcc, v29, v17, vcc
	global_store_dwordx4 v[16:17], v[12:15], off
	v_add_u32_e32 v16, 0x222, v154
	v_mad_u64_u32 v[18:19], s[0:1], s21, v26, v[18:19]
	v_mad_u64_u32 v[14:15], s[0:1], s20, v16, 0
	v_add_f64 v[62:63], v[118:119], v[122:123]
	v_mov_b32_e32 v25, v18
	v_mad_u64_u32 v[15:16], s[0:1], s21, v16, v[15:16]
	v_add_u32_e32 v18, 0x2d8, v154
	v_lshlrev_b64 v[12:13], 4, v[24:25]
	v_mad_u64_u32 v[16:17], s[0:1], s20, v18, 0
	v_add_co_u32_e32 v12, vcc, v28, v12
	v_addc_co_u32_e32 v13, vcc, v29, v13, vcc
	global_store_dwordx4 v[12:13], v[62:65], off
	v_lshlrev_b64 v[12:13], 4, v[14:15]
	v_mov_b32_e32 v14, v17
	v_mad_u64_u32 v[14:15], s[0:1], s21, v18, v[14:15]
	v_add_co_u32_e32 v12, vcc, v28, v12
	v_addc_co_u32_e32 v13, vcc, v29, v13, vcc
	v_mov_b32_e32 v17, v14
	global_store_dwordx4 v[12:13], v[54:57], off
	v_lshlrev_b64 v[12:13], 4, v[16:17]
	v_add_u32_e32 v16, 0x38e, v154
	v_mad_u64_u32 v[14:15], s[0:1], s20, v16, 0
	v_fma_f64 v[66:67], v[108:109], s[6:7], v[87:88]
	v_add_co_u32_e32 v12, vcc, v28, v12
	v_mad_u64_u32 v[15:16], s[0:1], s21, v16, v[15:16]
	v_addc_co_u32_e32 v13, vcc, v29, v13, vcc
	v_add_u32_e32 v18, 0x444, v154
	v_mad_u64_u32 v[16:17], s[0:1], s20, v18, 0
	global_store_dwordx4 v[12:13], v[46:49], off
	v_lshlrev_b64 v[12:13], 4, v[14:15]
	v_mov_b32_e32 v14, v17
	v_add_co_u32_e32 v12, vcc, v28, v12
	v_addc_co_u32_e32 v13, vcc, v29, v13, vcc
	global_store_dwordx4 v[12:13], v[4:7], off
	v_add_u32_e32 v12, 0x4fa, v154
	v_mad_u64_u32 v[14:15], s[0:1], s21, v18, v[14:15]
	v_mad_u64_u32 v[6:7], s[0:1], s20, v12, 0
	v_fma_f64 v[40:41], v[112:113], s[2:3], v[96:97]
	v_add_f64 v[66:67], v[66:67], v[92:93]
	v_mov_b32_e32 v17, v14
	v_mad_u64_u32 v[12:13], s[0:1], s21, v12, v[7:8]
	v_add_u32_e32 v15, 0x5b0, v154
	v_lshlrev_b64 v[4:5], 4, v[16:17]
	v_mad_u64_u32 v[13:14], s[0:1], s20, v15, 0
	v_add_co_u32_e32 v4, vcc, v28, v4
	v_addc_co_u32_e32 v5, vcc, v29, v5, vcc
	v_add_f64 v[40:41], v[40:41], v[66:67]
	global_store_dwordx4 v[4:5], v[0:3], off
	v_fma_f64 v[132:133], v[42:43], s[14:15], v[138:139]
	v_mov_b32_e32 v2, v14
	v_mad_u64_u32 v[2:3], s[0:1], s21, v15, v[2:3]
	v_add_u32_e32 v4, 0x666, v154
	v_mov_b32_e32 v7, v12
	v_mov_b32_e32 v14, v2
	v_mad_u64_u32 v[2:3], s[0:1], s20, v4, 0
	v_lshlrev_b64 v[0:1], 4, v[6:7]
	v_fma_f64 v[128:129], v[36:37], s[28:29], v[130:131]
	v_fma_f64 v[30:31], v[42:43], s[12:13], v[85:86]
	v_add_f64 v[34:35], v[34:35], v[40:41]
	v_add_co_u32_e32 v0, vcc, v28, v0
	v_addc_co_u32_e32 v1, vcc, v29, v1, vcc
	v_mad_u64_u32 v[3:4], s[0:1], s21, v4, v[3:4]
	v_add_u32_e32 v6, 0x71c, v154
	global_store_dwordx4 v[0:1], v[8:11], off
	v_lshlrev_b64 v[0:1], 4, v[13:14]
	v_mad_u64_u32 v[4:5], s[0:1], s20, v6, 0
	v_add_f64 v[60:61], v[142:143], v[126:127]
	v_add_f64 v[58:59], v[132:133], v[124:125]
	v_add_co_u32_e32 v0, vcc, v28, v0
	v_addc_co_u32_e32 v1, vcc, v29, v1, vcc
	global_store_dwordx4 v[0:1], v[50:53], off
	v_lshlrev_b64 v[0:1], 4, v[2:3]
	v_mov_b32_e32 v2, v5
	v_mad_u64_u32 v[2:3], s[0:1], s21, v6, v[2:3]
	v_add_f64 v[68:69], v[128:129], v[136:137]
	v_add_f64 v[66:67], v[30:31], v[34:35]
	v_add_co_u32_e32 v0, vcc, v28, v0
	v_addc_co_u32_e32 v1, vcc, v29, v1, vcc
	v_mov_b32_e32 v5, v2
	global_store_dwordx4 v[0:1], v[58:61], off
	v_lshlrev_b64 v[0:1], 4, v[4:5]
	v_add_co_u32_e32 v0, vcc, v28, v0
	v_addc_co_u32_e32 v1, vcc, v29, v1, vcc
	global_store_dwordx4 v[0:1], v[66:69], off
.LBB0_37:
	s_endpgm
	.section	.rodata,"a",@progbits
	.p2align	6, 0x0
	.amdhsa_kernel fft_rtc_fwd_len2002_factors_2_13_7_11_wgs_182_tpt_182_halfLds_dp_op_CI_CI_sbrr_dirReg
		.amdhsa_group_segment_fixed_size 0
		.amdhsa_private_segment_fixed_size 0
		.amdhsa_kernarg_size 104
		.amdhsa_user_sgpr_count 6
		.amdhsa_user_sgpr_private_segment_buffer 1
		.amdhsa_user_sgpr_dispatch_ptr 0
		.amdhsa_user_sgpr_queue_ptr 0
		.amdhsa_user_sgpr_kernarg_segment_ptr 1
		.amdhsa_user_sgpr_dispatch_id 0
		.amdhsa_user_sgpr_flat_scratch_init 0
		.amdhsa_user_sgpr_private_segment_size 0
		.amdhsa_uses_dynamic_stack 0
		.amdhsa_system_sgpr_private_segment_wavefront_offset 0
		.amdhsa_system_sgpr_workgroup_id_x 1
		.amdhsa_system_sgpr_workgroup_id_y 0
		.amdhsa_system_sgpr_workgroup_id_z 0
		.amdhsa_system_sgpr_workgroup_info 0
		.amdhsa_system_vgpr_workitem_id 0
		.amdhsa_next_free_vgpr 208
		.amdhsa_next_free_sgpr 44
		.amdhsa_reserve_vcc 1
		.amdhsa_reserve_flat_scratch 0
		.amdhsa_float_round_mode_32 0
		.amdhsa_float_round_mode_16_64 0
		.amdhsa_float_denorm_mode_32 3
		.amdhsa_float_denorm_mode_16_64 3
		.amdhsa_dx10_clamp 1
		.amdhsa_ieee_mode 1
		.amdhsa_fp16_overflow 0
		.amdhsa_exception_fp_ieee_invalid_op 0
		.amdhsa_exception_fp_denorm_src 0
		.amdhsa_exception_fp_ieee_div_zero 0
		.amdhsa_exception_fp_ieee_overflow 0
		.amdhsa_exception_fp_ieee_underflow 0
		.amdhsa_exception_fp_ieee_inexact 0
		.amdhsa_exception_int_div_zero 0
	.end_amdhsa_kernel
	.text
.Lfunc_end0:
	.size	fft_rtc_fwd_len2002_factors_2_13_7_11_wgs_182_tpt_182_halfLds_dp_op_CI_CI_sbrr_dirReg, .Lfunc_end0-fft_rtc_fwd_len2002_factors_2_13_7_11_wgs_182_tpt_182_halfLds_dp_op_CI_CI_sbrr_dirReg
                                        ; -- End function
	.section	.AMDGPU.csdata,"",@progbits
; Kernel info:
; codeLenInByte = 14368
; NumSgprs: 48
; NumVgprs: 208
; ScratchSize: 0
; MemoryBound: 1
; FloatMode: 240
; IeeeMode: 1
; LDSByteSize: 0 bytes/workgroup (compile time only)
; SGPRBlocks: 5
; VGPRBlocks: 51
; NumSGPRsForWavesPerEU: 48
; NumVGPRsForWavesPerEU: 208
; Occupancy: 1
; WaveLimiterHint : 1
; COMPUTE_PGM_RSRC2:SCRATCH_EN: 0
; COMPUTE_PGM_RSRC2:USER_SGPR: 6
; COMPUTE_PGM_RSRC2:TRAP_HANDLER: 0
; COMPUTE_PGM_RSRC2:TGID_X_EN: 1
; COMPUTE_PGM_RSRC2:TGID_Y_EN: 0
; COMPUTE_PGM_RSRC2:TGID_Z_EN: 0
; COMPUTE_PGM_RSRC2:TIDIG_COMP_CNT: 0
	.type	__hip_cuid_9d37eb861c4abc81,@object ; @__hip_cuid_9d37eb861c4abc81
	.section	.bss,"aw",@nobits
	.globl	__hip_cuid_9d37eb861c4abc81
__hip_cuid_9d37eb861c4abc81:
	.byte	0                               ; 0x0
	.size	__hip_cuid_9d37eb861c4abc81, 1

	.ident	"AMD clang version 19.0.0git (https://github.com/RadeonOpenCompute/llvm-project roc-6.4.0 25133 c7fe45cf4b819c5991fe208aaa96edf142730f1d)"
	.section	".note.GNU-stack","",@progbits
	.addrsig
	.addrsig_sym __hip_cuid_9d37eb861c4abc81
	.amdgpu_metadata
---
amdhsa.kernels:
  - .args:
      - .actual_access:  read_only
        .address_space:  global
        .offset:         0
        .size:           8
        .value_kind:     global_buffer
      - .offset:         8
        .size:           8
        .value_kind:     by_value
      - .actual_access:  read_only
        .address_space:  global
        .offset:         16
        .size:           8
        .value_kind:     global_buffer
      - .actual_access:  read_only
        .address_space:  global
        .offset:         24
        .size:           8
        .value_kind:     global_buffer
      - .actual_access:  read_only
        .address_space:  global
        .offset:         32
        .size:           8
        .value_kind:     global_buffer
      - .offset:         40
        .size:           8
        .value_kind:     by_value
      - .actual_access:  read_only
        .address_space:  global
        .offset:         48
        .size:           8
        .value_kind:     global_buffer
      - .actual_access:  read_only
        .address_space:  global
        .offset:         56
        .size:           8
        .value_kind:     global_buffer
      - .offset:         64
        .size:           4
        .value_kind:     by_value
      - .actual_access:  read_only
        .address_space:  global
        .offset:         72
        .size:           8
        .value_kind:     global_buffer
      - .actual_access:  read_only
        .address_space:  global
        .offset:         80
        .size:           8
        .value_kind:     global_buffer
      - .actual_access:  read_only
        .address_space:  global
        .offset:         88
        .size:           8
        .value_kind:     global_buffer
      - .actual_access:  write_only
        .address_space:  global
        .offset:         96
        .size:           8
        .value_kind:     global_buffer
    .group_segment_fixed_size: 0
    .kernarg_segment_align: 8
    .kernarg_segment_size: 104
    .language:       OpenCL C
    .language_version:
      - 2
      - 0
    .max_flat_workgroup_size: 182
    .name:           fft_rtc_fwd_len2002_factors_2_13_7_11_wgs_182_tpt_182_halfLds_dp_op_CI_CI_sbrr_dirReg
    .private_segment_fixed_size: 0
    .sgpr_count:     48
    .sgpr_spill_count: 0
    .symbol:         fft_rtc_fwd_len2002_factors_2_13_7_11_wgs_182_tpt_182_halfLds_dp_op_CI_CI_sbrr_dirReg.kd
    .uniform_work_group_size: 1
    .uses_dynamic_stack: false
    .vgpr_count:     208
    .vgpr_spill_count: 0
    .wavefront_size: 64
amdhsa.target:   amdgcn-amd-amdhsa--gfx906
amdhsa.version:
  - 1
  - 2
...

	.end_amdgpu_metadata
